;; amdgpu-corpus repo=ROCm/rocFFT kind=compiled arch=gfx1030 opt=O3
	.text
	.amdgcn_target "amdgcn-amd-amdhsa--gfx1030"
	.amdhsa_code_object_version 6
	.protected	bluestein_single_back_len2197_dim1_sp_op_CI_CI ; -- Begin function bluestein_single_back_len2197_dim1_sp_op_CI_CI
	.globl	bluestein_single_back_len2197_dim1_sp_op_CI_CI
	.p2align	8
	.type	bluestein_single_back_len2197_dim1_sp_op_CI_CI,@function
bluestein_single_back_len2197_dim1_sp_op_CI_CI: ; @bluestein_single_back_len2197_dim1_sp_op_CI_CI
; %bb.0:
	s_load_dwordx4 s[12:15], s[4:5], 0x28
	v_mul_u32_u24_e32 v1, 0x184, v0
	v_mov_b32_e32 v53, 0
	s_mov_b32 s0, exec_lo
	v_lshrrev_b32_e32 v1, 16, v1
	v_add_nc_u32_e32 v52, s6, v1
	s_waitcnt lgkmcnt(0)
	v_cmpx_gt_u64_e64 s[12:13], v[52:53]
	s_cbranch_execz .LBB0_2
; %bb.1:
	s_clause 0x1
	s_load_dwordx4 s[0:3], s[4:5], 0x18
	s_load_dwordx4 s[8:11], s[4:5], 0x0
	v_mul_lo_u16 v1, 0xa9, v1
	v_sub_nc_u16 v26, v0, v1
	v_and_b32_e32 v80, 0xffff, v26
	v_lshlrev_b32_e32 v79, 3, v80
	s_waitcnt lgkmcnt(0)
	s_load_dwordx4 s[16:19], s[0:1], 0x0
	s_clause 0x1
	global_load_dwordx2 v[67:68], v79, s[8:9]
	global_load_dwordx2 v[59:60], v79, s[8:9] offset:1352
	v_add_co_u32 v86, s0, s8, v79
	v_add_co_ci_u32_e64 v87, null, s9, 0, s0
	v_add_nc_u32_e32 v85, 0x800, v79
	v_add_co_u32 v0, vcc_lo, 0x800, v86
	v_add_co_ci_u32_e32 v1, vcc_lo, 0, v87, vcc_lo
	v_add_co_u32 v2, vcc_lo, 0x1000, v86
	v_add_co_ci_u32_e32 v3, vcc_lo, 0, v87, vcc_lo
	;; [unrolled: 2-line block ×3, first 2 shown]
	s_waitcnt lgkmcnt(0)
	v_mad_u64_u32 v[6:7], null, s18, v52, 0
	v_mad_u64_u32 v[8:9], null, s16, v80, 0
	v_add_co_u32 v10, vcc_lo, 0x2000, v86
	v_add_co_ci_u32_e32 v11, vcc_lo, 0, v87, vcc_lo
	v_add_co_u32 v12, vcc_lo, 0x2800, v86
	v_mad_u64_u32 v[16:17], null, s19, v52, v[7:8]
	v_mad_u64_u32 v[17:18], null, s17, v80, v[9:10]
	v_add_co_ci_u32_e32 v13, vcc_lo, 0, v87, vcc_lo
	v_add_co_u32 v14, vcc_lo, 0x3000, v86
	v_mov_b32_e32 v7, v16
	s_clause 0x1
	global_load_dwordx2 v[77:78], v[0:1], off offset:656
	global_load_dwordx2 v[75:76], v[0:1], off offset:2008
	v_mov_b32_e32 v9, v17
	v_add_co_ci_u32_e32 v15, vcc_lo, 0, v87, vcc_lo
	v_lshlrev_b64 v[0:1], 3, v[6:7]
	v_add_co_u32 v18, vcc_lo, 0x3800, v86
	v_add_co_ci_u32_e32 v19, vcc_lo, 0, v87, vcc_lo
	s_clause 0x2
	global_load_dwordx2 v[73:74], v[2:3], off offset:1312
	global_load_dwordx2 v[71:72], v[4:5], off offset:616
	;; [unrolled: 1-line block ×3, first 2 shown]
	v_lshlrev_b64 v[2:3], 3, v[8:9]
	v_add_co_u32 v0, vcc_lo, s14, v0
	v_add_co_ci_u32_e32 v1, vcc_lo, s15, v1, vcc_lo
	s_mul_i32 s0, s17, 0x548
	v_add_co_u32 v0, vcc_lo, v0, v2
	v_add_co_ci_u32_e32 v1, vcc_lo, v1, v3, vcc_lo
	s_mul_hi_u32 s1, s16, 0x548
	s_mul_i32 s6, s16, 0x548
	s_add_i32 s1, s1, s0
	v_add_co_u32 v2, vcc_lo, v0, s6
	v_add_co_ci_u32_e32 v3, vcc_lo, s1, v1, vcc_lo
	global_load_dwordx2 v[61:62], v[10:11], off offset:1272
	v_add_co_u32 v4, vcc_lo, v2, s6
	v_add_co_ci_u32_e32 v5, vcc_lo, s1, v3, vcc_lo
	s_clause 0x1
	global_load_dwordx2 v[57:58], v[12:13], off offset:576
	global_load_dwordx2 v[55:56], v[12:13], off offset:1928
	v_add_co_u32 v6, vcc_lo, v4, s6
	v_add_co_ci_u32_e32 v7, vcc_lo, s1, v5, vcc_lo
	global_load_dwordx2 v[53:54], v[14:15], off offset:1232
	v_add_co_u32 v8, vcc_lo, v6, s6
	v_add_co_ci_u32_e32 v9, vcc_lo, s1, v7, vcc_lo
	global_load_dwordx2 v[0:1], v[0:1], off
	v_add_co_u32 v10, vcc_lo, v8, s6
	v_add_co_ci_u32_e32 v11, vcc_lo, s1, v9, vcc_lo
	s_clause 0x1
	global_load_dwordx2 v[2:3], v[2:3], off
	global_load_dwordx2 v[4:5], v[4:5], off
	v_add_co_u32 v12, vcc_lo, v10, s6
	v_add_co_ci_u32_e32 v13, vcc_lo, s1, v11, vcc_lo
	s_clause 0x1
	global_load_dwordx2 v[6:7], v[6:7], off
	global_load_dwordx2 v[8:9], v[8:9], off
	v_add_co_u32 v14, vcc_lo, v12, s6
	v_add_co_ci_u32_e32 v15, vcc_lo, s1, v13, vcc_lo
	global_load_dwordx2 v[10:11], v[10:11], off
	v_add_co_u32 v16, vcc_lo, v14, s6
	v_add_co_ci_u32_e32 v17, vcc_lo, s1, v15, vcc_lo
	;; [unrolled: 3-line block ×6, first 2 shown]
	global_load_dwordx2 v[22:23], v[22:23], off
	global_load_dwordx2 v[24:25], v[24:25], off
	s_clause 0x1
	global_load_dwordx2 v[63:64], v[18:19], off offset:536
	global_load_dwordx2 v[65:66], v[18:19], off offset:1888
	global_load_dwordx2 v[18:19], v[27:28], off
	v_add_nc_u32_e32 v84, 0x1400, v79
	v_add_nc_u32_e32 v83, 0x1e00, v79
	;; [unrolled: 1-line block ×4, first 2 shown]
	s_load_dwordx4 s[0:3], s[2:3], 0x0
	s_load_dwordx2 s[6:7], s[4:5], 0x38
	s_mov_b32 s4, 0xaab49c24
	s_mov_b32 s5, 0x3f3dd46b
	s_waitcnt vmcnt(14)
	v_mul_f32_e32 v27, v1, v68
	v_mul_f32_e32 v28, v0, v68
	s_waitcnt vmcnt(13)
	v_mul_f32_e32 v29, v3, v60
	v_fmac_f32_e32 v27, v0, v67
	v_fma_f32 v28, v1, v67, -v28
	v_mul_f32_e32 v1, v2, v60
	s_waitcnt vmcnt(12)
	v_mul_f32_e32 v0, v5, v78
	v_fmac_f32_e32 v29, v2, v59
	v_mul_f32_e32 v31, v4, v78
	s_waitcnt vmcnt(11)
	v_mul_f32_e32 v2, v7, v76
	v_mul_f32_e32 v32, v6, v76
	v_fma_f32 v30, v3, v59, -v1
	v_fmac_f32_e32 v0, v4, v77
	v_fma_f32 v1, v5, v77, -v31
	v_fmac_f32_e32 v2, v6, v75
	v_fma_f32 v3, v7, v75, -v32
	s_waitcnt vmcnt(10)
	v_mul_f32_e32 v5, v8, v74
	v_mul_f32_e32 v4, v9, v74
	ds_write2_b64 v79, v[27:28], v[29:30] offset1:169
	s_waitcnt vmcnt(9)
	v_mul_f32_e32 v6, v11, v72
	ds_write2_b64 v85, v[0:1], v[2:3] offset0:82 offset1:251
	v_fma_f32 v5, v9, v73, -v5
	v_mul_f32_e32 v1, v10, v72
	s_waitcnt vmcnt(8)
	v_mul_f32_e32 v3, v12, v70
	s_waitcnt vmcnt(7)
	v_mul_f32_e32 v9, v14, v62
	v_mul_f32_e32 v0, v13, v70
	;; [unrolled: 1-line block ×3, first 2 shown]
	v_fmac_f32_e32 v4, v8, v73
	v_fma_f32 v7, v11, v71, -v1
	v_fma_f32 v1, v13, v69, -v3
	s_waitcnt vmcnt(6)
	v_mul_f32_e32 v8, v17, v58
	v_fma_f32 v3, v15, v61, -v9
	v_mul_f32_e32 v9, v16, v58
	v_fmac_f32_e32 v6, v10, v71
	s_waitcnt vmcnt(5)
	v_mul_f32_e32 v10, v21, v56
	v_mul_f32_e32 v11, v20, v56
	v_fmac_f32_e32 v0, v12, v69
	v_fmac_f32_e32 v2, v14, v61
	s_waitcnt vmcnt(4)
	v_mul_f32_e32 v12, v23, v54
	v_mul_f32_e32 v13, v22, v54
	s_waitcnt vmcnt(2)
	v_mul_f32_e32 v14, v25, v64
	v_mul_f32_e32 v15, v24, v64
	v_fmac_f32_e32 v8, v16, v57
	v_fma_f32 v9, v17, v57, -v9
	s_waitcnt vmcnt(0)
	v_mul_f32_e32 v16, v19, v66
	v_mul_f32_e32 v17, v18, v66
	v_fmac_f32_e32 v10, v20, v55
	v_fma_f32 v11, v21, v55, -v11
	v_fmac_f32_e32 v12, v22, v53
	v_fma_f32 v13, v23, v53, -v13
	;; [unrolled: 2-line block ×4, first 2 shown]
	ds_write2_b64 v84, v[4:5], v[6:7] offset0:36 offset1:205
	ds_write2_b64 v83, v[0:1], v[2:3] offset0:54 offset1:223
	;; [unrolled: 1-line block ×4, first 2 shown]
	ds_write_b64 v79, v[16:17] offset:16224
	s_waitcnt lgkmcnt(0)
	s_barrier
	buffer_gl0_inv
	ds_read2_b64 v[8:11], v79 offset1:169
	ds_read2_b64 v[16:19], v85 offset0:82 offset1:251
	ds_read_b64 v[24:25], v79 offset:16224
	ds_read2_b64 v[12:15], v84 offset0:36 offset1:205
	ds_read2_b64 v[0:3], v81 offset0:26 offset1:195
	;; [unrolled: 1-line block ×4, first 2 shown]
	s_waitcnt lgkmcnt(0)
	s_barrier
	buffer_gl0_inv
	v_add_f32_e32 v27, v8, v10
	v_add_f32_e32 v28, v9, v11
	v_add_f32_e32 v29, v24, v10
	v_sub_f32_e32 v30, v11, v25
	v_add_f32_e32 v31, v2, v16
	v_sub_f32_e32 v41, v16, v2
	v_sub_f32_e32 v10, v10, v24
	v_add_f32_e32 v16, v27, v16
	v_add_f32_e32 v40, v3, v17
	v_sub_f32_e32 v42, v17, v3
	v_add_f32_e32 v11, v25, v11
	v_add_f32_e32 v17, v28, v17
	v_mul_f32_e32 v27, 0xbeedf032, v30
	v_mul_f32_e32 v28, 0xbf52af12, v30
	;; [unrolled: 1-line block ×12, first 2 shown]
	v_add_f32_e32 v16, v16, v18
	v_add_f32_e32 v32, v6, v12
	v_sub_f32_e32 v34, v12, v6
	v_add_f32_e32 v43, v0, v18
	v_add_f32_e32 v44, v1, v19
	v_sub_f32_e32 v45, v18, v0
	v_sub_f32_e32 v46, v19, v1
	v_add_f32_e32 v17, v17, v19
	v_fma_f32 v18, 0x3f62ad3f, v29, -v27
	v_fmac_f32_e32 v27, 0x3f62ad3f, v29
	v_fma_f32 v19, 0x3f116cb1, v29, -v28
	v_fmac_f32_e32 v28, 0x3f116cb1, v29
	;; [unrolled: 2-line block ×6, first 2 shown]
	v_fmamk_f32 v29, v11, 0x3f62ad3f, v50
	v_fma_f32 v50, 0x3f62ad3f, v11, -v50
	v_fmamk_f32 v135, v11, 0x3f116cb1, v51
	v_fma_f32 v51, 0x3f116cb1, v11, -v51
	;; [unrolled: 2-line block ×6, first 2 shown]
	v_add_f32_e32 v12, v16, v12
	v_add_f32_e32 v29, v9, v29
	;; [unrolled: 1-line block ×15, first 2 shown]
	v_sub_f32_e32 v35, v13, v7
	v_add_f32_e32 v13, v17, v13
	v_add_f32_e32 v36, v4, v14
	;; [unrolled: 1-line block ×3, first 2 shown]
	v_sub_f32_e32 v38, v14, v4
	v_mul_f32_e32 v91, 0xbf52af12, v42
	v_add_f32_e32 v12, v13, v15
	v_mul_f32_e32 v92, 0xbf6f5d39, v42
	v_add_f32_e32 v10, v10, v22
	v_mul_f32_e32 v93, 0xbe750f2a, v42
	v_mul_f32_e32 v94, 0x3f29c268, v42
	v_add_f32_e32 v12, v12, v21
	v_mul_f32_e32 v95, 0x3f7e222b, v42
	v_add_f32_e32 v4, v10, v4
	v_mul_f32_e32 v42, 0x3eedf032, v42
	v_mul_f32_e32 v96, 0xbf52af12, v41
	;; [unrolled: 1-line block ×4, first 2 shown]
	v_add_f32_e32 v4, v4, v6
	v_mul_f32_e32 v99, 0x3f29c268, v41
	v_mul_f32_e32 v100, 0x3f7e222b, v41
	;; [unrolled: 1-line block ×4, first 2 shown]
	v_fma_f32 v11, 0x3f116cb1, v31, -v91
	v_fmac_f32_e32 v91, 0x3f116cb1, v31
	v_add_f32_e32 v18, v8, v18
	v_add_f32_e32 v27, v8, v27
	;; [unrolled: 1-line block ×5, first 2 shown]
	v_sub_f32_e32 v39, v15, v5
	v_mul_f32_e32 v102, 0xbe750f2a, v46
	v_mul_f32_e32 v103, 0x3f6f5d39, v46
	;; [unrolled: 1-line block ×12, first 2 shown]
	v_fma_f32 v140, 0xbeb58ec6, v31, -v92
	v_fmac_f32_e32 v92, 0xbeb58ec6, v31
	v_fma_f32 v141, 0xbf788fa5, v31, -v93
	v_fmac_f32_e32 v93, 0xbf788fa5, v31
	;; [unrolled: 2-line block ×5, first 2 shown]
	v_fmamk_f32 v31, v40, 0x3f116cb1, v96
	v_fma_f32 v96, 0x3f116cb1, v40, -v96
	v_fmamk_f32 v145, v40, 0xbeb58ec6, v97
	v_fma_f32 v97, 0xbeb58ec6, v40, -v97
	;; [unrolled: 2-line block ×6, first 2 shown]
	v_fma_f32 v41, 0x3df6dbef, v43, -v101
	v_fmac_f32_e32 v101, 0x3df6dbef, v43
	v_add_f32_e32 v19, v8, v19
	v_add_f32_e32 v28, v8, v28
	;; [unrolled: 1-line block ×14, first 2 shown]
	v_mul_f32_e32 v112, 0x3f29c268, v35
	v_mul_f32_e32 v113, 0x3eedf032, v35
	;; [unrolled: 1-line block ×17, first 2 shown]
	v_fma_f32 v150, 0xbf788fa5, v43, -v102
	v_fmac_f32_e32 v102, 0xbf788fa5, v43
	v_fma_f32 v151, 0xbeb58ec6, v43, -v103
	v_fmac_f32_e32 v103, 0xbeb58ec6, v43
	;; [unrolled: 2-line block ×5, first 2 shown]
	v_fmamk_f32 v43, v44, 0x3df6dbef, v106
	v_fma_f32 v106, 0x3df6dbef, v44, -v106
	v_fmamk_f32 v155, v44, 0xbf788fa5, v107
	v_fma_f32 v107, 0xbf788fa5, v44, -v107
	;; [unrolled: 2-line block ×6, first 2 shown]
	v_fma_f32 v45, 0xbeb58ec6, v32, -v111
	v_fmac_f32_e32 v111, 0xbeb58ec6, v32
	v_add_f32_e32 v13, v31, v29
	v_add_f32_e32 v15, v96, v50
	;; [unrolled: 1-line block ×9, first 2 shown]
	v_sub_f32_e32 v24, v21, v23
	v_mul_f32_e32 v122, 0xbf29c268, v38
	v_fma_f32 v160, 0xbf3f9e67, v32, -v112
	v_fmac_f32_e32 v112, 0xbf3f9e67, v32
	v_fma_f32 v161, 0x3f62ad3f, v32, -v113
	v_fmac_f32_e32 v113, 0x3f62ad3f, v32
	;; [unrolled: 2-line block ×5, first 2 shown]
	v_fmamk_f32 v32, v33, 0xbeb58ec6, v116
	v_fma_f32 v116, 0xbeb58ec6, v33, -v116
	v_fmamk_f32 v165, v33, 0xbf3f9e67, v117
	v_fma_f32 v117, 0xbf3f9e67, v33, -v117
	;; [unrolled: 2-line block ×6, first 2 shown]
	v_fma_f32 v34, 0xbf3f9e67, v36, -v121
	v_fmac_f32_e32 v121, 0xbf3f9e67, v36
	v_fma_f32 v171, 0x3df6dbef, v36, -v123
	v_fmac_f32_e32 v123, 0x3df6dbef, v36
	;; [unrolled: 2-line block ×5, first 2 shown]
	v_fma_f32 v179, 0xbeb58ec6, v36, -v39
	v_add_f32_e32 v17, v140, v19
	v_add_f32_e32 v18, v145, v135
	;; [unrolled: 1-line block ×13, first 2 shown]
	v_mul_f32_e32 v2, 0xbf6f5d39, v38
	v_fmac_f32_e32 v39, 0xbeb58ec6, v36
	v_add_f32_e32 v36, v22, v20
	v_mul_f32_e32 v4, 0xbe750f2a, v24
	v_sub_f32_e32 v20, v20, v22
	v_mul_f32_e32 v124, 0x3f7e222b, v38
	v_mul_f32_e32 v126, 0xbf52af12, v38
	;; [unrolled: 1-line block ×4, first 2 shown]
	v_fmamk_f32 v170, v37, 0xbf3f9e67, v122
	v_fma_f32 v122, 0xbf3f9e67, v37, -v122
	v_add_f32_e32 v29, v146, v136
	v_add_f32_e32 v30, v93, v47
	;; [unrolled: 1-line block ×15, first 2 shown]
	v_fmamk_f32 v3, v37, 0xbeb58ec6, v2
	v_fma_f32 v2, 0xbeb58ec6, v37, -v2
	v_add_f32_e32 v23, v23, v21
	v_fma_f32 v5, 0xbf788fa5, v36, -v4
	v_mul_f32_e32 v6, 0xbe750f2a, v20
	v_fmac_f32_e32 v4, 0xbf788fa5, v36
	v_fmamk_f32 v172, v37, 0x3df6dbef, v124
	v_fma_f32 v124, 0x3df6dbef, v37, -v124
	v_fmamk_f32 v174, v37, 0x3f116cb1, v126
	v_fma_f32 v126, 0x3f116cb1, v37, -v126
	;; [unrolled: 2-line block ×4, first 2 shown]
	v_add_f32_e32 v31, v98, v88
	v_add_f32_e32 v47, v142, v132
	v_add_f32_e32 v50, v147, v137
	v_add_f32_e32 v48, v94, v48
	v_add_f32_e32 v51, v99, v89
	v_add_f32_e32 v88, v143, v133
	v_add_f32_e32 v89, v148, v138
	v_add_f32_e32 v29, v156, v29
	v_add_f32_e32 v30, v103, v30
	v_add_f32_e32 v17, v160, v17
	v_add_f32_e32 v18, v165, v18
	v_add_f32_e32 v19, v112, v19
	v_add_f32_e32 v27, v117, v27
	v_add_f32_e32 v28, v161, v28
	v_add_f32_e32 v11, v170, v13
	v_add_f32_e32 v13, v122, v15
	v_add_f32_e32 v37, v3, v16
	v_add_f32_e32 v38, v39, v8
	v_add_f32_e32 v39, v2, v9
	v_add_f32_e32 v2, v5, v10
	v_fmamk_f32 v3, v23, 0xbf788fa5, v6
	v_fma_f32 v5, 0xbf788fa5, v23, -v6
	v_mul_f32_e32 v7, 0x3eedf032, v20
	v_add_f32_e32 v4, v4, v12
	v_mul_f32_e32 v12, 0xbf29c268, v24
	v_add_f32_e32 v31, v108, v31
	v_add_f32_e32 v40, v152, v47
	;; [unrolled: 1-line block ×14, first 2 shown]
	v_mul_f32_e32 v8, 0x3eedf032, v24
	v_add_f32_e32 v3, v3, v11
	v_add_f32_e32 v5, v5, v13
	v_fmamk_f32 v9, v23, 0x3f62ad3f, v7
	v_fma_f32 v10, 0x3f62ad3f, v23, -v7
	v_fma_f32 v11, 0xbf3f9e67, v36, -v12
	v_mul_f32_e32 v13, 0xbf29c268, v20
	v_add_f32_e32 v31, v118, v31
	v_add_f32_e32 v32, v162, v40
	;; [unrolled: 1-line block ×9, first 2 shown]
	v_fma_f32 v6, 0x3f62ad3f, v36, -v8
	v_fmac_f32_e32 v8, 0x3f62ad3f, v36
	v_add_f32_e32 v7, v9, v15
	v_add_f32_e32 v9, v10, v18
	;; [unrolled: 1-line block ×3, first 2 shown]
	v_fmamk_f32 v11, v23, 0xbf3f9e67, v13
	v_fmac_f32_e32 v12, 0xbf3f9e67, v36
	v_mul_f32_e32 v15, 0x3f52af12, v20
	v_mul_f32_e32 v21, 0xbf6f5d39, v24
	;; [unrolled: 1-line block ×3, first 2 shown]
	v_add_f32_e32 v49, v95, v49
	v_add_f32_e32 v90, v100, v90
	v_add_f32_e32 v91, v144, v134
	v_add_f32_e32 v29, v126, v31
	v_add_f32_e32 v31, v176, v40
	v_add_f32_e32 v33, v128, v42
	v_add_f32_e32 v34, v177, v43
	v_add_f32_e32 v35, v178, v44
	v_add_f32_e32 v8, v8, v17
	v_add_f32_e32 v11, v11, v27
	v_add_f32_e32 v12, v12, v28
	v_fmamk_f32 v17, v23, 0x3f116cb1, v15
	v_fma_f32 v18, 0x3f116cb1, v23, -v15
	v_fma_f32 v19, 0xbeb58ec6, v36, -v21
	v_fmamk_f32 v27, v23, 0xbeb58ec6, v22
	v_and_b32_e32 v28, 0xff, v26
	v_add_f32_e32 v49, v105, v49
	v_add_f32_e32 v50, v110, v90
	;; [unrolled: 1-line block ×3, first 2 shown]
	v_mul_f32_e32 v16, 0x3f52af12, v24
	v_add_f32_e32 v15, v17, v31
	v_add_f32_e32 v17, v18, v33
	;; [unrolled: 1-line block ×4, first 2 shown]
	v_mul_lo_u16 v27, 0x4f, v28
	v_add_f32_e32 v45, v115, v49
	v_add_f32_e32 v46, v120, v50
	v_add_f32_e32 v47, v164, v51
	v_add_f32_e32 v30, v175, v32
	v_add_f32_e32 v6, v6, v14
	v_fma_f32 v13, 0xbf3f9e67, v23, -v13
	v_fma_f32 v14, 0x3f116cb1, v36, -v16
	v_mul_f32_e32 v24, 0x3f7e222b, v24
	v_lshrrev_b16 v28, 10, v27
	v_add_f32_e32 v32, v127, v41
	v_add_f32_e32 v40, v129, v45
	;; [unrolled: 1-line block ×7, first 2 shown]
	v_fmac_f32_e32 v21, 0xbeb58ec6, v36
	v_fma_f32 v22, 0xbeb58ec6, v23, -v22
	v_fma_f32 v29, 0x3df6dbef, v36, -v24
	v_mul_f32_e32 v30, 0x3f7e222b, v20
	v_mul_lo_u16 v27, v28, 13
	v_add_f32_e32 v20, v21, v40
	v_add_f32_e32 v21, v22, v41
	;; [unrolled: 1-line block ×3, first 2 shown]
	v_fmamk_f32 v25, v23, 0x3df6dbef, v30
	v_fma_f32 v29, 0x3df6dbef, v23, -v30
	v_mul_lo_u16 v30, v26, 13
	v_mov_b32_e32 v31, 3
	v_sub_nc_u16 v26, v26, v27
	v_add_f32_e32 v23, v25, v37
	v_add_f32_e32 v25, v29, v39
	v_fmac_f32_e32 v24, 0x3df6dbef, v36
	v_lshlrev_b32_sdwa v89, v31, v30 dst_sel:DWORD dst_unused:UNUSED_PAD src0_sel:DWORD src1_sel:WORD_0
	v_and_b32_e32 v29, 0xff, v26
	v_fmac_f32_e32 v16, 0x3f116cb1, v36
	ds_write2_b64 v89, v[0:1], v[2:3] offset1:1
	ds_write2_b64 v89, v[6:7], v[10:11] offset0:2 offset1:3
	v_mul_u32_u24_e32 v0, 12, v29
	v_add_f32_e32 v24, v24, v38
	v_add_f32_e32 v16, v16, v32
	ds_write2_b64 v89, v[14:15], v[18:19] offset0:4 offset1:5
	ds_write2_b64 v89, v[22:23], v[24:25] offset0:6 offset1:7
	;; [unrolled: 1-line block ×4, first 2 shown]
	v_lshlrev_b32_e32 v20, 3, v0
	ds_write_b64 v89, v[4:5] offset:96
	s_waitcnt lgkmcnt(0)
	s_barrier
	buffer_gl0_inv
	s_clause 0x5
	global_load_dwordx4 v[0:3], v20, s[10:11]
	global_load_dwordx4 v[4:7], v20, s[10:11] offset:16
	global_load_dwordx4 v[8:11], v20, s[10:11] offset:32
	;; [unrolled: 1-line block ×5, first 2 shown]
	v_mov_b32_e32 v34, 0xa9
	ds_read2_b64 v[24:27], v85 offset0:82 offset1:251
	ds_read2_b64 v[30:33], v84 offset0:36 offset1:205
	v_mul_u32_u24_sdwa v28, v28, v34 dst_sel:DWORD dst_unused:UNUSED_PAD src0_sel:WORD_0 src1_sel:DWORD
	ds_read2_b64 v[34:37], v83 offset0:54 offset1:223
	ds_read2_b64 v[38:41], v82 offset0:72 offset1:241
	v_add_lshl_u32 v88, v28, v29, 3
	ds_read2_b64 v[42:45], v81 offset0:26 offset1:195
	ds_read_b64 v[28:29], v79 offset:16224
	ds_read2_b64 v[46:49], v79 offset1:169
	s_waitcnt vmcnt(0) lgkmcnt(0)
	s_barrier
	buffer_gl0_inv
	v_mul_f32_e32 v50, v25, v3
	v_mul_f32_e32 v110, v48, v1
	;; [unrolled: 1-line block ×7, first 2 shown]
	v_fma_f32 v50, v24, v2, -v50
	v_fmac_f32_e32 v110, v49, v0
	v_fma_f32 v24, v48, v0, -v111
	v_mul_f32_e32 v94, v33, v9
	v_mul_f32_e32 v97, v34, v11
	;; [unrolled: 1-line block ×3, first 2 shown]
	v_fmac_f32_e32 v51, v25, v2
	v_fma_f32 v108, v28, v22, -v108
	v_fma_f32 v48, v44, v20, -v106
	v_add_f32_e32 v49, v46, v24
	v_add_f32_e32 v106, v47, v110
	v_mul_f32_e32 v90, v27, v5
	v_mul_f32_e32 v93, v30, v7
	;; [unrolled: 1-line block ×6, first 2 shown]
	v_fmac_f32_e32 v91, v27, v4
	v_fma_f32 v94, v32, v8, -v94
	v_fmac_f32_e32 v97, v35, v10
	v_fmac_f32_e32 v109, v29, v22
	v_sub_f32_e32 v35, v24, v108
	v_add_f32_e32 v32, v50, v48
	v_sub_f32_e32 v111, v50, v48
	v_add_f32_e32 v49, v49, v50
	v_add_f32_e32 v50, v106, v51
	v_mul_f32_e32 v92, v31, v7
	v_mul_f32_e32 v102, v41, v17
	;; [unrolled: 1-line block ×3, first 2 shown]
	v_fma_f32 v90, v26, v4, -v90
	v_fmac_f32_e32 v93, v31, v6
	v_fma_f32 v96, v34, v10, -v96
	v_fma_f32 v104, v42, v18, -v104
	v_fmac_f32_e32 v107, v45, v20
	v_sub_f32_e32 v34, v110, v109
	v_add_f32_e32 v45, v110, v109
	v_mul_f32_e32 v128, 0xbf7e222b, v35
	v_add_f32_e32 v50, v50, v91
	v_mul_f32_e32 v100, v39, v15
	v_mul_f32_e32 v103, v40, v17
	v_fma_f32 v92, v30, v6, -v92
	v_fmac_f32_e32 v95, v33, v8
	v_fma_f32 v102, v40, v16, -v102
	v_fmac_f32_e32 v105, v43, v18
	v_add_f32_e32 v44, v24, v108
	v_sub_f32_e32 v110, v51, v107
	v_add_f32_e32 v33, v51, v107
	v_sub_f32_e32 v113, v90, v104
	v_mul_f32_e32 v120, 0xbeedf032, v34
	v_mul_f32_e32 v121, 0xbf52af12, v34
	;; [unrolled: 1-line block ×5, first 2 shown]
	v_fmamk_f32 v168, v45, 0x3df6dbef, v128
	v_add_f32_e32 v49, v49, v90
	v_add_f32_e32 v50, v50, v93
	v_mul_f32_e32 v99, v36, v13
	v_mul_f32_e32 v101, v38, v15
	v_fma_f32 v100, v38, v14, -v100
	v_fmac_f32_e32 v103, v41, v16
	v_sub_f32_e32 v112, v91, v105
	v_add_f32_e32 v31, v91, v105
	v_sub_f32_e32 v115, v92, v102
	v_mul_f32_e32 v123, 0xbf6f5d39, v34
	v_mul_f32_e32 v124, 0xbf29c268, v34
	;; [unrolled: 1-line block ×9, first 2 shown]
	v_fma_f32 v51, 0x3f62ad3f, v44, -v120
	v_fma_f32 v162, 0x3f116cb1, v44, -v121
	;; [unrolled: 1-line block ×3, first 2 shown]
	v_fmamk_f32 v167, v45, 0x3f116cb1, v127
	v_fmamk_f32 v182, v33, 0xbf788fa5, v43
	v_add_f32_e32 v168, v47, v168
	v_add_f32_e32 v49, v49, v92
	;; [unrolled: 1-line block ×3, first 2 shown]
	v_mul_f32_e32 v98, v37, v13
	v_fmac_f32_e32 v99, v37, v12
	v_fmac_f32_e32 v101, v39, v14
	v_add_f32_e32 v30, v90, v104
	v_sub_f32_e32 v114, v93, v103
	v_add_f32_e32 v28, v92, v102
	v_add_f32_e32 v29, v93, v103
	v_sub_f32_e32 v117, v94, v100
	v_mul_f32_e32 v129, 0xbf6f5d39, v35
	v_mul_f32_e32 v130, 0xbf29c268, v35
	;; [unrolled: 1-line block ×9, first 2 shown]
	v_fmac_f32_e32 v120, 0x3f62ad3f, v44
	v_fmac_f32_e32 v121, 0x3f116cb1, v44
	;; [unrolled: 1-line block ×3, first 2 shown]
	v_fma_f32 v164, 0xbeb58ec6, v44, -v123
	v_fmac_f32_e32 v123, 0xbeb58ec6, v44
	v_fma_f32 v165, 0xbf3f9e67, v44, -v124
	v_fmac_f32_e32 v124, 0xbf3f9e67, v44
	;; [unrolled: 2-line block ×3, first 2 shown]
	v_fmamk_f32 v44, v45, 0x3f62ad3f, v126
	v_fma_f32 v171, 0xbeb58ec6, v32, -v132
	v_fmamk_f32 v172, v33, 0xbeb58ec6, v133
	v_fma_f32 v181, 0xbf788fa5, v32, -v41
	v_fmamk_f32 v184, v31, 0xbeb58ec6, v42
	v_add_f32_e32 v162, v46, v162
	v_add_f32_e32 v167, v47, v167
	;; [unrolled: 1-line block ×4, first 2 shown]
	v_fma_f32 v92, 0x3f116cb1, v32, -v142
	v_add_f32_e32 v168, v182, v168
	v_add_f32_e32 v49, v49, v94
	;; [unrolled: 1-line block ×3, first 2 shown]
	v_fma_f32 v98, v36, v12, -v98
	v_sub_f32_e32 v116, v95, v101
	v_add_f32_e32 v27, v95, v101
	v_mul_f32_e32 v136, 0x3f29c268, v114
	v_mul_f32_e32 v137, 0x3f29c268, v115
	;; [unrolled: 1-line block ×6, first 2 shown]
	v_fma_f32 v126, 0x3f62ad3f, v45, -v126
	v_fma_f32 v127, 0x3f116cb1, v45, -v127
	;; [unrolled: 1-line block ×3, first 2 shown]
	v_fmamk_f32 v169, v45, 0xbeb58ec6, v129
	v_fma_f32 v129, 0xbeb58ec6, v45, -v129
	v_fmamk_f32 v170, v45, 0xbf3f9e67, v130
	v_fma_f32 v130, 0xbf3f9e67, v45, -v130
	;; [unrolled: 2-line block ×4, first 2 shown]
	v_fma_f32 v183, 0xbeb58ec6, v30, -v39
	v_add_f32_e32 v44, v47, v44
	v_add_f32_e32 v120, v46, v120
	;; [unrolled: 1-line block ×10, first 2 shown]
	v_fmamk_f32 v46, v29, 0x3f62ad3f, v40
	v_fmamk_f32 v93, v33, 0x3f116cb1, v143
	v_add_f32_e32 v162, v171, v162
	v_fma_f32 v171, 0x3df6dbef, v30, -v144
	v_add_f32_e32 v167, v172, v167
	v_add_f32_e32 v163, v181, v163
	;; [unrolled: 1-line block ×7, first 2 shown]
	v_sub_f32_e32 v118, v97, v99
	v_sub_f32_e32 v119, v96, v98
	v_mul_f32_e32 v138, 0x3f7e222b, v116
	v_mul_f32_e32 v139, 0x3f7e222b, v117
	;; [unrolled: 1-line block ×5, first 2 shown]
	v_fma_f32 v131, 0xbf3f9e67, v28, -v136
	v_fmamk_f32 v176, v29, 0xbf3f9e67, v137
	v_add_f32_e32 v185, v47, v45
	v_fma_f32 v45, 0x3f62ad3f, v28, -v37
	v_fmamk_f32 v90, v27, 0x3f116cb1, v38
	v_fmamk_f32 v172, v31, 0x3df6dbef, v145
	v_fma_f32 v181, 0xbeb58ec6, v28, -v146
	v_add_f32_e32 v44, v93, v44
	v_add_f32_e32 v162, v174, v162
	;; [unrolled: 1-line block ×10, first 2 shown]
	v_mul_f32_e32 v140, 0x3eedf032, v118
	v_mul_f32_e32 v141, 0x3eedf032, v119
	;; [unrolled: 1-line block ×6, first 2 shown]
	v_fma_f32 v177, 0x3df6dbef, v26, -v138
	v_fmamk_f32 v178, v27, 0x3df6dbef, v139
	v_add_f32_e32 v126, v47, v126
	v_add_f32_e32 v127, v47, v127
	;; [unrolled: 1-line block ×8, first 2 shown]
	v_fma_f32 v47, 0x3f116cb1, v26, -v35
	v_fmamk_f32 v182, v29, 0xbeb58ec6, v147
	v_fma_f32 v92, 0xbf3f9e67, v26, -v148
	v_add_f32_e32 v44, v172, v44
	v_add_f32_e32 v97, v131, v162
	;; [unrolled: 1-line block ×8, first 2 shown]
	v_mul_f32_e32 v153, 0x3eedf032, v112
	v_fma_f32 v179, 0x3f62ad3f, v24, -v140
	v_fmamk_f32 v180, v25, 0x3f62ad3f, v141
	v_fma_f32 v91, 0xbf3f9e67, v24, -v34
	v_fmamk_f32 v186, v25, 0xbf3f9e67, v36
	;; [unrolled: 2-line block ×3, first 2 shown]
	v_add_f32_e32 v44, v182, v44
	v_add_f32_e32 v97, v177, v97
	;; [unrolled: 1-line block ×7, first 2 shown]
	v_mul_f32_e32 v152, 0x3f29c268, v111
	v_mul_f32_e32 v155, 0xbf7e222b, v114
	v_add_f32_e32 v93, v93, v164
	v_fma_f32 v174, 0x3f62ad3f, v30, -v153
	v_add_f32_e32 v50, v95, v44
	v_add_f32_e32 v44, v179, v97
	;; [unrolled: 1-line block ×7, first 2 shown]
	v_mul_f32_e32 v154, 0x3eedf032, v113
	v_mul_f32_e32 v157, 0x3e750f2a, v116
	;; [unrolled: 1-line block ×3, first 2 shown]
	v_fmamk_f32 v94, v33, 0xbf3f9e67, v152
	v_fma_f32 v183, 0x3df6dbef, v28, -v155
	v_add_f32_e32 v93, v174, v93
	v_add_f32_e32 v51, v51, v48
	ds_write2_b64 v88, v[44:45], v[46:47] offset0:26 offset1:39
	v_add_f32_e32 v45, v90, v109
	v_mul_f32_e32 v90, 0x3f7e222b, v111
	v_mul_f32_e32 v156, 0xbf7e222b, v115
	v_add_f32_e32 v94, v94, v169
	v_fmamk_f32 v175, v31, 0x3f62ad3f, v154
	v_fma_f32 v171, 0xbf788fa5, v26, -v157
	v_add_f32_e32 v93, v183, v93
	v_add_f32_e32 v44, v51, v108
	v_fma_f32 v47, 0x3df6dbef, v32, -v161
	v_mul_f32_e32 v91, 0xbf52af12, v112
	v_fmamk_f32 v51, v33, 0x3df6dbef, v90
	v_mul_f32_e32 v92, 0xbf52af12, v113
	v_mul_f32_e32 v159, 0x3f52af12, v118
	;; [unrolled: 1-line block ×5, first 2 shown]
	v_fmamk_f32 v184, v29, 0x3df6dbef, v156
	v_add_f32_e32 v94, v175, v94
	v_add_f32_e32 v46, v171, v93
	;; [unrolled: 1-line block ×3, first 2 shown]
	v_fma_f32 v93, 0x3f116cb1, v30, -v91
	v_mul_f32_e32 v95, 0x3e750f2a, v114
	v_add_f32_e32 v51, v51, v170
	v_fmamk_f32 v97, v31, 0x3f116cb1, v92
	v_mul_f32_e32 v98, 0x3e750f2a, v115
	v_fma_f32 v96, 0x3f116cb1, v24, -v159
	v_mul_f32_e32 v160, 0x3f52af12, v119
	v_fma_f32 v164, 0xbf788fa5, v24, -v150
	v_fmamk_f32 v169, v25, 0xbf788fa5, v151
	v_fmamk_f32 v172, v27, 0xbf788fa5, v158
	v_add_f32_e32 v94, v184, v94
	v_add_f32_e32 v47, v93, v47
	v_fma_f32 v93, 0xbf788fa5, v28, -v95
	v_add_f32_e32 v51, v97, v51
	v_fmamk_f32 v97, v29, 0xbf788fa5, v98
	v_mul_f32_e32 v99, 0x3eedf032, v116
	v_add_f32_e32 v46, v96, v46
	v_mul_f32_e32 v96, 0x3eedf032, v117
	v_add_f32_e32 v48, v164, v49
	v_add_f32_e32 v49, v169, v50
	v_fmamk_f32 v50, v25, 0x3f116cb1, v160
	v_add_f32_e32 v94, v172, v94
	v_add_f32_e32 v93, v93, v47
	;; [unrolled: 1-line block ×3, first 2 shown]
	v_fma_f32 v97, 0x3f62ad3f, v26, -v99
	v_mul_f32_e32 v100, 0xbf6f5d39, v118
	v_fmamk_f32 v101, v27, 0x3f62ad3f, v96
	v_mul_f32_e32 v102, 0x3eedf032, v110
	v_add_f32_e32 v47, v50, v94
	v_add_f32_e32 v50, v97, v93
	v_fma_f32 v93, 0xbeb58ec6, v24, -v100
	v_add_f32_e32 v51, v101, v51
	v_fma_f32 v94, 0x3f62ad3f, v32, -v102
	v_mul_f32_e32 v97, 0x3eedf032, v111
	v_mul_f32_e32 v101, 0xbf29c268, v112
	v_add_f32_e32 v50, v93, v50
	v_mul_f32_e32 v93, 0xbf6f5d39, v119
	v_add_f32_e32 v94, v94, v166
	v_fmamk_f32 v103, v33, 0x3f62ad3f, v97
	v_fma_f32 v104, 0xbf3f9e67, v30, -v101
	v_mul_f32_e32 v105, 0xbf29c268, v113
	v_mul_f32_e32 v108, 0x3f52af12, v114
	v_fmamk_f32 v107, v25, 0xbeb58ec6, v93
	v_add_f32_e32 v103, v103, v173
	v_add_f32_e32 v94, v104, v94
	v_fmamk_f32 v104, v31, 0xbf3f9e67, v105
	v_mul_f32_e32 v109, 0x3f52af12, v115
	v_fma_f32 v110, 0x3f116cb1, v28, -v108
	v_mul_f32_e32 v111, 0xbf6f5d39, v116
	v_add_f32_e32 v51, v107, v51
	v_add_f32_e32 v103, v104, v103
	v_fmamk_f32 v104, v29, 0x3f116cb1, v109
	v_add_f32_e32 v94, v110, v94
	v_fma_f32 v107, 0xbeb58ec6, v26, -v111
	ds_write2_b64 v88, v[44:45], v[48:49] offset1:13
	ds_write2_b64 v88, v[46:47], v[50:51] offset0:52 offset1:65
	v_mul_f32_e32 v46, 0xbf6f5d39, v117
	v_mul_f32_e32 v47, 0x3f7e222b, v118
	v_add_f32_e32 v44, v104, v103
	v_add_f32_e32 v45, v107, v94
	v_fmac_f32_e32 v102, 0x3f62ad3f, v32
	v_fma_f32 v48, 0x3f62ad3f, v33, -v97
	v_fmamk_f32 v49, v27, 0xbeb58ec6, v46
	v_mul_f32_e32 v50, 0x3f7e222b, v119
	v_fma_f32 v51, 0x3df6dbef, v24, -v47
	v_add_f32_e32 v94, v102, v125
	v_add_f32_e32 v48, v48, v185
	v_fmac_f32_e32 v101, 0xbf3f9e67, v30
	v_fma_f32 v97, 0xbf3f9e67, v31, -v105
	v_add_f32_e32 v49, v49, v44
	v_add_f32_e32 v44, v51, v45
	v_fmamk_f32 v45, v25, 0x3df6dbef, v50
	v_add_f32_e32 v51, v101, v94
	v_add_f32_e32 v48, v97, v48
	v_fmac_f32_e32 v108, 0x3f116cb1, v28
	v_fma_f32 v94, 0x3f116cb1, v29, -v109
	v_add_f32_e32 v45, v45, v49
	v_fmac_f32_e32 v142, 0x3f116cb1, v32
	v_fma_f32 v49, 0x3f116cb1, v33, -v143
	v_add_f32_e32 v51, v108, v51
	v_add_f32_e32 v48, v94, v48
	v_fmac_f32_e32 v111, 0xbeb58ec6, v26
	v_add_f32_e32 v94, v142, v120
	v_add_f32_e32 v49, v49, v126
	v_fmac_f32_e32 v144, 0x3df6dbef, v30
	v_fma_f32 v97, 0x3df6dbef, v31, -v145
	v_fma_f32 v46, 0xbeb58ec6, v27, -v46
	v_add_f32_e32 v51, v111, v51
	v_fmac_f32_e32 v47, 0x3df6dbef, v24
	v_add_f32_e32 v94, v144, v94
	v_add_f32_e32 v49, v97, v49
	v_fmac_f32_e32 v146, 0xbeb58ec6, v28
	v_fma_f32 v97, 0xbeb58ec6, v29, -v147
	v_add_f32_e32 v48, v46, v48
	v_fma_f32 v50, 0x3df6dbef, v25, -v50
	v_add_f32_e32 v46, v47, v51
	v_add_f32_e32 v51, v146, v94
	;; [unrolled: 1-line block ×3, first 2 shown]
	v_fmac_f32_e32 v148, 0xbf3f9e67, v26
	v_fma_f32 v94, 0xbf3f9e67, v27, -v149
	v_fmac_f32_e32 v132, 0xbeb58ec6, v32
	v_add_f32_e32 v47, v50, v48
	v_fma_f32 v48, 0xbeb58ec6, v33, -v133
	v_add_f32_e32 v50, v148, v51
	v_add_f32_e32 v49, v94, v49
	;; [unrolled: 1-line block ×3, first 2 shown]
	v_fmac_f32_e32 v134, 0xbf788fa5, v30
	v_add_f32_e32 v48, v48, v127
	v_fma_f32 v94, 0xbf788fa5, v31, -v135
	v_fmac_f32_e32 v150, 0xbf788fa5, v24
	v_fmac_f32_e32 v136, 0xbf3f9e67, v28
	v_add_f32_e32 v51, v134, v51
	v_fma_f32 v101, 0xbf3f9e67, v29, -v137
	v_add_f32_e32 v94, v94, v48
	v_fma_f32 v97, 0xbf788fa5, v25, -v151
	v_add_f32_e32 v48, v150, v50
	v_add_f32_e32 v50, v136, v51
	v_fma_f32 v102, 0x3f62ad3f, v31, -v154
	v_add_f32_e32 v51, v101, v94
	v_fma_f32 v94, 0xbf3f9e67, v33, -v152
	v_add_f32_e32 v49, v97, v49
	v_fma_f32 v97, 0x3df6dbef, v27, -v139
	v_fmac_f32_e32 v161, 0x3df6dbef, v32
	v_fmac_f32_e32 v106, 0xbf3f9e67, v32
	v_add_f32_e32 v94, v94, v129
	v_fma_f32 v90, 0x3df6dbef, v33, -v90
	v_add_f32_e32 v51, v97, v51
	v_fmac_f32_e32 v91, 0x3f116cb1, v30
	v_fmac_f32_e32 v41, 0xbf788fa5, v32
	v_add_f32_e32 v94, v102, v94
	v_fma_f32 v102, 0x3f62ad3f, v25, -v141
	v_fma_f32 v32, 0xbf788fa5, v33, -v43
	v_add_f32_e32 v101, v106, v123
	v_fmac_f32_e32 v153, 0x3f62ad3f, v30
	v_add_f32_e32 v103, v90, v130
	v_add_f32_e32 v51, v102, v51
	v_add_f32_e32 v102, v161, v124
	v_fma_f32 v92, 0x3f116cb1, v31, -v92
	v_fmac_f32_e32 v95, 0xbf788fa5, v28
	v_add_f32_e32 v41, v41, v122
	v_add_f32_e32 v32, v32, v128
	;; [unrolled: 1-line block ×3, first 2 shown]
	v_fmac_f32_e32 v39, 0xbeb58ec6, v30
	v_fma_f32 v30, 0xbeb58ec6, v31, -v42
	v_add_f32_e32 v97, v153, v101
	v_fmac_f32_e32 v155, 0x3df6dbef, v28
	v_fma_f32 v101, 0x3df6dbef, v29, -v156
	v_add_f32_e32 v43, v92, v103
	v_add_f32_e32 v31, v95, v33
	v_fma_f32 v33, 0xbf788fa5, v29, -v98
	v_add_f32_e32 v39, v39, v41
	v_add_f32_e32 v30, v30, v32
	v_fmac_f32_e32 v37, 0x3f62ad3f, v28
	v_fma_f32 v28, 0x3f62ad3f, v29, -v40
	v_add_f32_e32 v97, v155, v97
	v_fmac_f32_e32 v157, 0xbf788fa5, v26
	v_add_f32_e32 v94, v101, v94
	v_fma_f32 v101, 0xbf788fa5, v27, -v158
	v_fmac_f32_e32 v99, 0x3f62ad3f, v26
	v_add_f32_e32 v29, v33, v43
	v_fma_f32 v32, 0x3f62ad3f, v27, -v96
	v_fmac_f32_e32 v138, 0x3df6dbef, v26
	v_add_f32_e32 v33, v37, v39
	v_add_f32_e32 v28, v28, v30
	v_fmac_f32_e32 v35, 0x3f116cb1, v26
	v_fma_f32 v26, 0x3f116cb1, v27, -v38
	v_add_f32_e32 v97, v157, v97
	v_add_f32_e32 v94, v101, v94
	v_fmac_f32_e32 v159, 0x3f116cb1, v24
	v_fma_f32 v101, 0x3f116cb1, v25, -v160
	;; [unrolled: 4-line block ×3, first 2 shown]
	v_add_f32_e32 v50, v138, v50
	v_fmac_f32_e32 v140, 0x3f62ad3f, v24
	v_add_f32_e32 v30, v35, v33
	v_add_f32_e32 v28, v26, v28
	v_fmac_f32_e32 v34, 0xbf3f9e67, v24
	v_fma_f32 v32, 0xbf3f9e67, v25, -v36
	v_mad_u64_u32 v[92:93], null, 0x60, v80, s[10:11]
	v_add_f32_e32 v90, v159, v97
	v_add_f32_e32 v91, v101, v94
	;; [unrolled: 1-line block ×7, first 2 shown]
	ds_write2_b64 v88, v[44:45], v[46:47] offset0:78 offset1:91
	ds_write2_b64 v88, v[24:25], v[90:91] offset0:104 offset1:117
	;; [unrolled: 1-line block ×3, first 2 shown]
	ds_write_b64 v88, v[48:49] offset:1248
	s_waitcnt lgkmcnt(0)
	s_barrier
	buffer_gl0_inv
	s_clause 0x5
	global_load_dwordx4 v[44:47], v[92:93], off offset:1248
	global_load_dwordx4 v[40:43], v[92:93], off offset:1264
	;; [unrolled: 1-line block ×6, first 2 shown]
	ds_read2_b64 v[90:93], v85 offset0:82 offset1:251
	ds_read2_b64 v[110:113], v84 offset0:36 offset1:205
	;; [unrolled: 1-line block ×5, first 2 shown]
	ds_read_b64 v[94:95], v79 offset:16224
	ds_read2_b64 v[48:51], v79 offset1:169
	s_waitcnt vmcnt(5) lgkmcnt(0)
	v_mul_f32_e32 v138, v50, v45
	v_mul_f32_e32 v139, v51, v45
	;; [unrolled: 1-line block ×4, first 2 shown]
	s_waitcnt vmcnt(2)
	v_mul_f32_e32 v114, v125, v33
	v_mul_f32_e32 v103, v124, v33
	s_waitcnt vmcnt(0)
	v_mul_f32_e32 v137, v95, v27
	v_mul_f32_e32 v96, v94, v27
	v_fmac_f32_e32 v138, v51, v44
	v_fma_f32 v50, v50, v44, -v139
	v_mul_f32_e32 v98, v93, v41
	v_mul_f32_e32 v117, v92, v41
	;; [unrolled: 1-line block ×5, first 2 shown]
	v_fma_f32 v120, v90, v46, -v97
	v_fmac_f32_e32 v119, v91, v46
	v_fma_f32 v115, v124, v32, -v114
	v_fmac_f32_e32 v103, v125, v32
	;; [unrolled: 2-line block ×3, first 2 shown]
	v_add_f32_e32 v124, v48, v50
	v_add_f32_e32 v125, v49, v138
	v_mul_f32_e32 v99, v111, v43
	v_mul_f32_e32 v109, v110, v43
	v_mul_f32_e32 v107, v113, v37
	v_mul_f32_e32 v134, v129, v29
	v_mul_f32_e32 v105, v128, v29
	v_mul_f32_e32 v135, v131, v31
	v_mul_f32_e32 v102, v130, v31
	v_mul_f32_e32 v136, v133, v25
	v_mul_f32_e32 v100, v132, v25
	v_fma_f32 v121, v92, v40, -v98
	v_fmac_f32_e32 v117, v93, v40
	v_fmac_f32_e32 v104, v113, v36
	v_fma_f32 v113, v122, v38, -v108
	v_fmac_f32_e32 v101, v123, v38
	v_sub_f32_e32 v122, v138, v96
	v_sub_f32_e32 v123, v50, v97
	v_add_f32_e32 v143, v124, v120
	v_add_f32_e32 v144, v125, v119
	v_mul_f32_e32 v118, v127, v35
	v_fma_f32 v116, v110, v42, -v99
	v_fmac_f32_e32 v109, v111, v42
	v_fma_f32 v111, v112, v36, -v107
	v_fma_f32 v112, v128, v28, -v134
	v_fmac_f32_e32 v105, v129, v28
	v_fma_f32 v107, v130, v30, -v135
	v_fmac_f32_e32 v102, v131, v30
	;; [unrolled: 2-line block ×3, first 2 shown]
	v_add_f32_e32 v128, v50, v97
	v_add_f32_e32 v129, v138, v96
	v_mul_f32_e32 v131, 0xbeedf032, v122
	v_mul_f32_e32 v132, 0xbf52af12, v122
	v_mul_f32_e32 v133, 0xbf7e222b, v122
	v_mul_f32_e32 v134, 0xbf6f5d39, v122
	v_mul_f32_e32 v135, 0xbf29c268, v122
	v_mul_f32_e32 v136, 0xbe750f2a, v122
	v_mul_f32_e32 v137, 0xbeedf032, v123
	v_add_f32_e32 v143, v143, v121
	v_add_f32_e32 v144, v144, v117
	v_mul_f32_e32 v106, v126, v35
	v_fma_f32 v114, v126, v34, -v118
	v_sub_f32_e32 v95, v119, v100
	v_sub_f32_e32 v94, v120, v108
	;; [unrolled: 1-line block ×3, first 2 shown]
	v_add_f32_e32 v92, v116, v112
	v_sub_f32_e32 v126, v116, v112
	v_add_f32_e32 v93, v109, v105
	v_mul_f32_e32 v138, 0xbf52af12, v123
	v_mul_f32_e32 v139, 0xbf7e222b, v123
	;; [unrolled: 1-line block ×5, first 2 shown]
	v_fma_f32 v145, 0x3f62ad3f, v128, -v131
	v_fmac_f32_e32 v131, 0x3f62ad3f, v128
	v_fma_f32 v146, 0x3f116cb1, v128, -v132
	v_fmac_f32_e32 v132, 0x3f116cb1, v128
	;; [unrolled: 2-line block ×6, first 2 shown]
	v_fmamk_f32 v128, v129, 0x3f62ad3f, v137
	v_add_f32_e32 v116, v143, v116
	v_add_f32_e32 v109, v144, v109
	v_fmac_f32_e32 v106, v127, v34
	v_add_f32_e32 v50, v120, v108
	v_add_f32_e32 v51, v119, v100
	v_sub_f32_e32 v99, v117, v102
	v_sub_f32_e32 v98, v121, v107
	v_add_f32_e32 v91, v117, v102
	v_mul_f32_e32 v124, 0xbf52af12, v95
	v_mul_f32_e32 v127, 0xbf52af12, v94
	v_fma_f32 v137, 0x3f62ad3f, v129, -v137
	v_fmamk_f32 v151, v129, 0x3f116cb1, v138
	v_fma_f32 v138, 0x3f116cb1, v129, -v138
	v_fmamk_f32 v152, v129, 0x3df6dbef, v139
	;; [unrolled: 2-line block ×5, first 2 shown]
	v_fma_f32 v142, 0xbf788fa5, v129, -v142
	v_add_f32_e32 v145, v48, v145
	v_add_f32_e32 v162, v49, v128
	;; [unrolled: 1-line block ×16, first 2 shown]
	v_mul_f32_e32 v122, 0xbf7e222b, v99
	v_mul_f32_e32 v125, 0xbf7e222b, v98
	v_fma_f32 v156, 0x3f116cb1, v50, -v124
	v_fmamk_f32 v157, v51, 0x3f116cb1, v127
	v_add_f32_e32 v121, v49, v137
	v_add_f32_e32 v137, v49, v151
	;; [unrolled: 1-line block ×13, first 2 shown]
	v_mul_f32_e32 v123, 0xbf6f5d39, v126
	v_fma_f32 v158, 0x3df6dbef, v90, -v122
	v_fmamk_f32 v159, v91, 0x3df6dbef, v125
	v_add_f32_e32 v143, v156, v145
	v_add_f32_e32 v144, v157, v162
	;; [unrolled: 1-line block ×4, first 2 shown]
	v_sub_f32_e32 v113, v113, v115
	v_add_f32_e32 v109, v109, v103
	v_sub_f32_e32 v115, v111, v114
	v_sub_f32_e32 v130, v104, v106
	v_mul_f32_e32 v120, 0xbf6f5d39, v110
	v_fmamk_f32 v161, v93, 0xbeb58ec6, v123
	v_add_f32_e32 v116, v158, v143
	v_add_f32_e32 v143, v159, v144
	;; [unrolled: 1-line block ×5, first 2 shown]
	v_mul_f32_e32 v106, 0xbf29c268, v115
	v_add_f32_e32 v118, v111, v114
	v_mul_f32_e32 v119, 0xbf29c268, v130
	v_fma_f32 v160, 0xbeb58ec6, v92, -v120
	v_add_f32_e32 v143, v161, v143
	v_sub_f32_e32 v114, v101, v103
	v_add_f32_e32 v112, v49, v112
	v_add_f32_e32 v49, v101, v103
	;; [unrolled: 1-line block ×3, first 2 shown]
	v_fmamk_f32 v109, v104, 0xbf3f9e67, v106
	v_mul_f32_e32 v103, 0xbe750f2a, v113
	v_add_f32_e32 v116, v160, v116
	v_fma_f32 v144, 0xbf3f9e67, v118, -v119
	v_mul_f32_e32 v101, 0xbe750f2a, v114
	v_add_f32_e32 v107, v112, v107
	v_add_f32_e32 v102, v105, v102
	;; [unrolled: 1-line block ×3, first 2 shown]
	v_fmamk_f32 v112, v49, 0xbf788fa5, v103
	v_add_f32_e32 v111, v144, v116
	v_fma_f32 v109, 0xbf788fa5, v48, -v101
	v_add_f32_e32 v116, v107, v108
	v_add_f32_e32 v100, v102, v100
	v_mul_f32_e32 v102, 0xbf6f5d39, v95
	v_add_f32_e32 v108, v112, v105
	v_mul_f32_e32 v105, 0xbf6f5d39, v94
	v_add_f32_e32 v107, v109, v111
	v_add_f32_e32 v111, v116, v97
	v_fma_f32 v97, 0xbeb58ec6, v50, -v102
	v_mul_f32_e32 v116, 0xbe750f2a, v99
	v_add_f32_e32 v112, v100, v96
	v_fmamk_f32 v96, v51, 0xbeb58ec6, v105
	v_mul_f32_e32 v100, 0xbe750f2a, v98
	v_add_f32_e32 v97, v97, v131
	v_fma_f32 v109, 0xbf788fa5, v90, -v116
	v_mul_f32_e32 v131, 0x3f29c268, v110
	v_add_f32_e32 v96, v96, v137
	v_fmamk_f32 v137, v91, 0xbf788fa5, v100
	v_mul_f32_e32 v143, 0x3f29c268, v126
	;; [unrolled: 6-line block ×3, first 2 shown]
	ds_write2_b64 v79, v[111:112], v[107:108] offset1:169
	v_add_f32_e32 v97, v109, v97
	v_fma_f32 v107, 0x3df6dbef, v118, -v144
	v_add_f32_e32 v96, v137, v96
	v_fmamk_f32 v108, v104, 0x3df6dbef, v145
	v_mul_f32_e32 v137, 0x3eedf032, v114
	v_mul_f32_e32 v152, 0xbe750f2a, v95
	v_mul_f32_e32 v153, 0xbe750f2a, v94
	v_add_f32_e32 v97, v107, v97
	v_add_f32_e32 v107, v108, v96
	v_fma_f32 v96, 0x3f62ad3f, v48, -v137
	v_fma_f32 v108, 0xbf788fa5, v50, -v152
	v_fmamk_f32 v109, v51, 0xbf788fa5, v153
	v_mul_f32_e32 v154, 0x3f6f5d39, v99
	v_mul_f32_e32 v155, 0x3f6f5d39, v98
	v_add_f32_e32 v96, v96, v97
	v_add_f32_e32 v97, v108, v146
	;; [unrolled: 1-line block ×3, first 2 shown]
	v_fma_f32 v109, 0xbeb58ec6, v90, -v154
	v_fmamk_f32 v111, v91, 0xbeb58ec6, v155
	v_mul_f32_e32 v146, 0x3eedf032, v110
	v_mul_f32_e32 v147, 0x3eedf032, v126
	;; [unrolled: 1-line block ×3, first 2 shown]
	v_add_f32_e32 v97, v109, v97
	v_add_f32_e32 v108, v111, v108
	v_fma_f32 v109, 0x3f62ad3f, v92, -v146
	v_fmamk_f32 v111, v93, 0x3f62ad3f, v147
	v_mul_f32_e32 v157, 0xbf52af12, v130
	v_mul_f32_e32 v158, 0xbf52af12, v115
	v_fmamk_f32 v112, v49, 0x3f62ad3f, v156
	v_add_f32_e32 v109, v109, v97
	v_add_f32_e32 v108, v111, v108
	v_fma_f32 v111, 0x3f116cb1, v118, -v157
	v_fmamk_f32 v159, v104, 0x3f116cb1, v158
	v_mul_f32_e32 v160, 0xbf29c268, v114
	v_add_f32_e32 v97, v112, v107
	v_mul_f32_e32 v112, 0x3f29c268, v95
	v_add_f32_e32 v107, v111, v109
	v_add_f32_e32 v108, v159, v108
	v_fma_f32 v109, 0xbf3f9e67, v48, -v160
	v_mul_f32_e32 v159, 0xbf29c268, v113
	v_fma_f32 v111, 0xbf3f9e67, v50, -v112
	v_mul_f32_e32 v161, 0x3f29c268, v94
	v_mul_f32_e32 v162, 0x3eedf032, v99
	v_add_f32_e32 v107, v109, v107
	v_fmamk_f32 v109, v49, 0xbf3f9e67, v159
	v_add_f32_e32 v111, v111, v133
	v_fmamk_f32 v133, v51, 0xbf3f9e67, v161
	v_fma_f32 v163, 0x3f62ad3f, v90, -v162
	v_mul_f32_e32 v164, 0x3eedf032, v98
	v_mul_f32_e32 v165, 0xbf7e222b, v110
	v_add_f32_e32 v108, v109, v108
	v_add_f32_e32 v109, v133, v139
	v_add_f32_e32 v111, v163, v111
	v_fmamk_f32 v133, v91, 0x3f62ad3f, v164
	v_fma_f32 v139, 0x3df6dbef, v92, -v165
	v_mul_f32_e32 v163, 0xbf7e222b, v126
	v_mul_f32_e32 v166, 0x3e750f2a, v130
	ds_write2_b64 v85, v[96:97], v[107:108] offset0:82 offset1:251
	v_add_f32_e32 v96, v133, v109
	v_add_f32_e32 v97, v139, v111
	v_fmamk_f32 v107, v93, 0x3df6dbef, v163
	v_fma_f32 v108, 0xbf788fa5, v118, -v166
	v_mul_f32_e32 v109, 0x3e750f2a, v115
	v_mul_f32_e32 v111, 0x3f52af12, v114
	;; [unrolled: 1-line block ×3, first 2 shown]
	v_add_f32_e32 v96, v107, v96
	v_add_f32_e32 v97, v108, v97
	v_fmamk_f32 v107, v104, 0xbf788fa5, v109
	v_fma_f32 v108, 0x3f116cb1, v48, -v111
	v_fma_f32 v139, 0x3df6dbef, v50, -v133
	v_mul_f32_e32 v167, 0x3f7e222b, v94
	v_mul_f32_e32 v168, 0xbf52af12, v99
	v_add_f32_e32 v107, v107, v96
	v_add_f32_e32 v96, v108, v97
	v_add_f32_e32 v97, v139, v148
	v_fmamk_f32 v108, v51, 0x3df6dbef, v167
	v_fma_f32 v139, 0x3f116cb1, v90, -v168
	v_mul_f32_e32 v148, 0xbf52af12, v98
	v_mul_f32_e32 v169, 0x3e750f2a, v110
	;; [unrolled: 1-line block ×3, first 2 shown]
	v_add_f32_e32 v108, v108, v149
	v_add_f32_e32 v97, v139, v97
	v_fmamk_f32 v139, v91, 0x3f116cb1, v148
	v_fma_f32 v149, 0xbf788fa5, v92, -v169
	v_mul_f32_e32 v171, 0x3e750f2a, v126
	v_mul_f32_e32 v172, 0x3eedf032, v130
	v_fmamk_f32 v173, v49, 0x3f116cb1, v170
	v_add_f32_e32 v108, v139, v108
	v_add_f32_e32 v139, v149, v97
	v_fmamk_f32 v149, v93, 0xbf788fa5, v171
	v_fma_f32 v174, 0x3f62ad3f, v118, -v172
	v_mul_f32_e32 v175, 0x3eedf032, v115
	v_add_f32_e32 v97, v173, v107
	v_mul_f32_e32 v107, 0x3eedf032, v95
	v_add_f32_e32 v95, v149, v108
	v_add_f32_e32 v108, v174, v139
	v_fmamk_f32 v139, v104, 0x3f62ad3f, v175
	v_mul_f32_e32 v174, 0x3eedf032, v94
	v_fma_f32 v173, 0x3f62ad3f, v50, -v107
	v_mul_f32_e32 v99, 0xbf29c268, v99
	v_mul_f32_e32 v98, 0xbf29c268, v98
	v_add_f32_e32 v95, v139, v95
	v_mul_f32_e32 v110, 0x3f52af12, v110
	v_add_f32_e32 v139, v173, v150
	v_fmamk_f32 v150, v51, 0x3f62ad3f, v174
	v_fma_f32 v173, 0xbf3f9e67, v90, -v99
	v_mul_f32_e32 v149, 0xbf6f5d39, v114
	v_mul_f32_e32 v126, 0x3f52af12, v126
	;; [unrolled: 1-line block ×3, first 2 shown]
	v_add_f32_e32 v150, v150, v151
	v_add_f32_e32 v139, v173, v139
	v_fmamk_f32 v151, v91, 0xbf3f9e67, v98
	v_fma_f32 v173, 0x3f116cb1, v92, -v110
	v_fma_f32 v94, 0xbeb58ec6, v48, -v149
	v_mul_f32_e32 v115, 0xbf6f5d39, v115
	v_mul_f32_e32 v114, 0x3f7e222b, v114
	v_add_f32_e32 v150, v151, v150
	v_fmamk_f32 v151, v93, 0x3f116cb1, v126
	v_add_f32_e32 v139, v173, v139
	v_fma_f32 v173, 0xbeb58ec6, v118, -v130
	v_mul_f32_e32 v176, 0xbf6f5d39, v113
	v_add_f32_e32 v94, v94, v108
	v_add_f32_e32 v108, v151, v150
	v_fmac_f32_e32 v107, 0x3f62ad3f, v50
	v_add_f32_e32 v139, v173, v139
	v_fma_f32 v150, 0x3f62ad3f, v51, -v174
	v_fmamk_f32 v151, v104, 0xbeb58ec6, v115
	v_mul_f32_e32 v113, 0x3f7e222b, v113
	v_fma_f32 v173, 0x3df6dbef, v48, -v114
	v_add_f32_e32 v107, v107, v136
	v_add_f32_e32 v136, v150, v142
	v_fmac_f32_e32 v99, 0xbf3f9e67, v90
	v_fma_f32 v142, 0xbf3f9e67, v91, -v98
	v_add_f32_e32 v108, v151, v108
	v_add_f32_e32 v98, v173, v139
	v_fmamk_f32 v139, v49, 0x3df6dbef, v113
	v_add_f32_e32 v107, v99, v107
	v_add_f32_e32 v136, v142, v136
	v_fmac_f32_e32 v110, 0x3f116cb1, v92
	v_fma_f32 v126, 0x3f116cb1, v93, -v126
	v_add_f32_e32 v99, v139, v108
	v_fma_f32 v108, 0xbf3f9e67, v51, -v161
	v_fmac_f32_e32 v112, 0xbf3f9e67, v50
	v_add_f32_e32 v107, v110, v107
	v_add_f32_e32 v110, v126, v136
	v_fmac_f32_e32 v130, 0xbeb58ec6, v118
	v_add_f32_e32 v108, v108, v140
	v_fma_f32 v126, 0x3f62ad3f, v91, -v164
	v_fma_f32 v115, 0xbeb58ec6, v104, -v115
	v_add_f32_e32 v112, v112, v134
	v_fmac_f32_e32 v162, 0x3f62ad3f, v90
	v_add_f32_e32 v107, v130, v107
	v_fmac_f32_e32 v114, 0x3df6dbef, v48
	v_add_f32_e32 v108, v126, v108
	v_fma_f32 v126, 0x3df6dbef, v93, -v163
	v_add_f32_e32 v110, v115, v110
	v_fma_f32 v113, 0x3df6dbef, v49, -v113
	v_add_f32_e32 v112, v162, v112
	v_fmac_f32_e32 v165, 0x3df6dbef, v92
	v_add_f32_e32 v107, v114, v107
	v_add_f32_e32 v114, v126, v108
	v_fma_f32 v109, 0xbf788fa5, v104, -v109
	v_add_f32_e32 v108, v113, v110
	v_fma_f32 v110, 0x3df6dbef, v51, -v167
	v_add_f32_e32 v112, v165, v112
	v_fmac_f32_e32 v166, 0xbf788fa5, v118
	v_fmac_f32_e32 v133, 0x3df6dbef, v50
	v_add_f32_e32 v113, v109, v114
	v_add_f32_e32 v110, v110, v141
	v_fma_f32 v114, 0x3f116cb1, v91, -v148
	v_add_f32_e32 v112, v166, v112
	v_add_f32_e32 v109, v133, v135
	v_fmac_f32_e32 v168, 0x3f116cb1, v90
	v_fmac_f32_e32 v111, 0x3f116cb1, v48
	v_fma_f32 v115, 0x3f116cb1, v49, -v170
	v_add_f32_e32 v114, v114, v110
	v_fma_f32 v130, 0xbf788fa5, v93, -v171
	v_add_f32_e32 v126, v168, v109
	v_add_f32_e32 v109, v111, v112
	;; [unrolled: 1-line block ×3, first 2 shown]
	v_fma_f32 v113, 0x3f62ad3f, v104, -v175
	v_add_f32_e32 v112, v130, v114
	v_fmac_f32_e32 v152, 0xbf788fa5, v50
	v_fmac_f32_e32 v102, 0xbeb58ec6, v50
	v_fma_f32 v105, 0xbeb58ec6, v51, -v105
	v_fmac_f32_e32 v154, 0xbeb58ec6, v90
	v_add_f32_e32 v112, v113, v112
	v_fma_f32 v113, 0xbeb58ec6, v49, -v176
	v_add_f32_e32 v114, v152, v128
	v_fmac_f32_e32 v124, 0x3f116cb1, v50
	v_fma_f32 v50, 0x3f116cb1, v51, -v127
	v_add_f32_e32 v102, v102, v132
	v_add_f32_e32 v112, v113, v112
	v_fma_f32 v113, 0xbf788fa5, v51, -v153
	v_fmac_f32_e32 v116, 0xbf788fa5, v90
	v_add_f32_e32 v105, v105, v138
	v_fma_f32 v100, 0xbf788fa5, v91, -v100
	v_fma_f32 v115, 0xbeb58ec6, v91, -v155
	v_add_f32_e32 v113, v113, v129
	v_add_f32_e32 v51, v154, v114
	;; [unrolled: 1-line block ×4, first 2 shown]
	v_fmac_f32_e32 v122, 0x3df6dbef, v90
	v_fma_f32 v90, 0x3df6dbef, v91, -v125
	v_fmac_f32_e32 v169, 0xbf788fa5, v92
	v_add_f32_e32 v102, v116, v102
	v_fmac_f32_e32 v131, 0xbf3f9e67, v92
	v_add_f32_e32 v100, v100, v105
	v_fma_f32 v105, 0xbf3f9e67, v93, -v143
	v_add_f32_e32 v113, v115, v113
	v_fmac_f32_e32 v146, 0x3f62ad3f, v92
	v_fma_f32 v91, 0x3f62ad3f, v93, -v147
	v_add_f32_e32 v114, v122, v114
	v_add_f32_e32 v50, v90, v50
	v_fmac_f32_e32 v120, 0xbeb58ec6, v92
	v_fma_f32 v90, 0xbeb58ec6, v93, -v123
	v_add_f32_e32 v111, v169, v126
	v_fmac_f32_e32 v172, 0x3f62ad3f, v118
	v_add_f32_e32 v102, v131, v102
	v_fmac_f32_e32 v144, 0x3df6dbef, v118
	v_add_f32_e32 v100, v105, v100
	v_fma_f32 v105, 0x3df6dbef, v104, -v145
	v_add_f32_e32 v51, v146, v51
	v_fmac_f32_e32 v157, 0x3f116cb1, v118
	v_add_f32_e32 v91, v91, v113
	v_fma_f32 v92, 0x3f116cb1, v104, -v158
	v_add_f32_e32 v93, v120, v114
	v_add_f32_e32 v50, v90, v50
	v_fmac_f32_e32 v119, 0xbf3f9e67, v118
	v_fma_f32 v90, 0xbf3f9e67, v104, -v106
	v_fmamk_f32 v177, v49, 0xbeb58ec6, v176
	v_add_f32_e32 v111, v172, v111
	v_fmac_f32_e32 v149, 0xbeb58ec6, v48
	v_add_f32_e32 v102, v144, v102
	v_add_f32_e32 v100, v105, v100
	v_fmac_f32_e32 v137, 0x3f62ad3f, v48
	v_fma_f32 v105, 0x3f62ad3f, v49, -v156
	v_add_f32_e32 v51, v157, v51
	v_add_f32_e32 v91, v92, v91
	v_fmac_f32_e32 v160, 0xbf3f9e67, v48
	v_fma_f32 v92, 0xbf3f9e67, v49, -v159
	;; [unrolled: 4-line block ×3, first 2 shown]
	v_add_f32_e32 v95, v177, v95
	v_add_f32_e32 v111, v149, v111
	;; [unrolled: 1-line block ×8, first 2 shown]
	ds_write2_b64 v84, v[96:97], v[94:95] offset0:36 offset1:205
	ds_write2_b64 v83, v[98:99], v[107:108] offset0:54 offset1:223
	;; [unrolled: 1-line block ×4, first 2 shown]
	ds_write_b64 v79, v[50:51] offset:16224
	v_add_co_u32 v48, vcc_lo, 0x4000, v86
	v_add_co_ci_u32_e32 v49, vcc_lo, 0, v87, vcc_lo
	v_add_co_u32 v50, vcc_lo, 0x44a8, v86
	v_add_co_ci_u32_e32 v51, vcc_lo, 0, v87, vcc_lo
	;; [unrolled: 2-line block ×4, first 2 shown]
	s_waitcnt lgkmcnt(0)
	s_barrier
	buffer_gl0_inv
	s_clause 0x3
	global_load_dwordx2 v[94:95], v[48:49], off offset:1192
	global_load_dwordx2 v[106:107], v[90:91], off offset:1848
	global_load_dwordx2 v[108:109], v[92:93], off offset:1152
	global_load_dwordx2 v[90:91], v[50:51], off offset:1352
	v_add_co_u32 v48, vcc_lo, 0x5800, v86
	v_add_co_ci_u32_e32 v49, vcc_lo, 0, v87, vcc_lo
	s_clause 0x1
	global_load_dwordx2 v[110:111], v[48:49], off offset:456
	global_load_dwordx2 v[112:113], v[48:49], off offset:1808
	v_add_co_u32 v48, vcc_lo, 0x6000, v86
	v_add_co_ci_u32_e32 v49, vcc_lo, 0, v87, vcc_lo
	v_add_co_u32 v50, vcc_lo, 0x6800, v86
	v_add_co_ci_u32_e32 v51, vcc_lo, 0, v87, vcc_lo
	s_clause 0x2
	global_load_dwordx2 v[114:115], v[48:49], off offset:1112
	global_load_dwordx2 v[116:117], v[50:51], off offset:416
	;; [unrolled: 1-line block ×3, first 2 shown]
	v_add_co_u32 v48, vcc_lo, 0x7000, v86
	v_add_co_ci_u32_e32 v49, vcc_lo, 0, v87, vcc_lo
	v_add_co_u32 v50, vcc_lo, 0x7800, v86
	v_add_co_ci_u32_e32 v51, vcc_lo, 0, v87, vcc_lo
	s_clause 0x1
	global_load_dwordx2 v[120:121], v[48:49], off offset:1072
	global_load_dwordx2 v[122:123], v[50:51], off offset:376
	v_add_co_u32 v48, vcc_lo, 0x8000, v86
	v_add_co_ci_u32_e32 v49, vcc_lo, 0, v87, vcc_lo
	s_clause 0x1
	global_load_dwordx2 v[86:87], v[50:51], off offset:1728
	global_load_dwordx2 v[124:125], v[48:49], off offset:1032
	ds_read2_b64 v[48:51], v79 offset1:169
	s_waitcnt vmcnt(12) lgkmcnt(0)
	v_mul_f32_e32 v93, v49, v95
	v_mul_f32_e32 v92, v48, v95
	s_waitcnt vmcnt(9)
	v_mul_f32_e32 v96, v51, v91
	v_mul_f32_e32 v95, v50, v91
	v_fma_f32 v91, v48, v94, -v93
	v_fmac_f32_e32 v92, v49, v94
	v_fma_f32 v94, v50, v90, -v96
	v_fmac_f32_e32 v95, v51, v90
	ds_write2_b64 v79, v[91:92], v[94:95] offset1:169
	ds_read2_b64 v[48:51], v85 offset0:82 offset1:251
	ds_read2_b64 v[90:93], v84 offset0:36 offset1:205
	;; [unrolled: 1-line block ×5, first 2 shown]
	s_waitcnt lgkmcnt(4)
	v_mul_f32_e32 v126, v49, v107
	v_mul_f32_e32 v127, v48, v107
	v_mul_f32_e32 v128, v51, v109
	v_mul_f32_e32 v107, v50, v109
	s_waitcnt vmcnt(8) lgkmcnt(3)
	v_mul_f32_e32 v129, v91, v111
	v_fma_f32 v126, v48, v106, -v126
	v_fmac_f32_e32 v127, v49, v106
	v_fma_f32 v106, v50, v108, -v128
	v_fmac_f32_e32 v107, v51, v108
	ds_read_b64 v[50:51], v79 offset:16224
	v_mul_f32_e32 v109, v90, v111
	s_waitcnt vmcnt(7)
	v_mul_f32_e32 v130, v93, v113
	v_mul_f32_e32 v111, v92, v113
	s_waitcnt vmcnt(6) lgkmcnt(3)
	v_mul_f32_e32 v48, v95, v115
	v_mul_f32_e32 v49, v94, v115
	v_fma_f32 v108, v90, v110, -v129
	v_fmac_f32_e32 v109, v91, v110
	v_fma_f32 v110, v92, v112, -v130
	v_fmac_f32_e32 v111, v93, v112
	s_waitcnt vmcnt(5)
	v_mul_f32_e32 v90, v97, v117
	v_mul_f32_e32 v91, v96, v117
	s_waitcnt vmcnt(4) lgkmcnt(2)
	v_mul_f32_e32 v92, v99, v119
	v_mul_f32_e32 v93, v98, v119
	v_fma_f32 v48, v94, v114, -v48
	s_waitcnt vmcnt(3)
	v_mul_f32_e32 v94, v101, v121
	v_fmac_f32_e32 v49, v95, v114
	v_mul_f32_e32 v95, v100, v121
	v_fma_f32 v90, v96, v116, -v90
	v_fmac_f32_e32 v91, v97, v116
	v_fma_f32 v92, v98, v118, -v92
	s_waitcnt vmcnt(2) lgkmcnt(1)
	v_mul_f32_e32 v96, v103, v123
	v_fmac_f32_e32 v93, v99, v118
	v_mul_f32_e32 v97, v102, v123
	s_waitcnt vmcnt(1)
	v_mul_f32_e32 v98, v105, v87
	v_mul_f32_e32 v99, v104, v87
	v_fma_f32 v94, v100, v120, -v94
	s_waitcnt vmcnt(0) lgkmcnt(0)
	v_mul_f32_e32 v100, v51, v125
	v_mul_f32_e32 v87, v50, v125
	v_fmac_f32_e32 v95, v101, v120
	v_fma_f32 v96, v102, v122, -v96
	v_fmac_f32_e32 v97, v103, v122
	v_fma_f32 v98, v104, v86, -v98
	;; [unrolled: 2-line block ×3, first 2 shown]
	v_fmac_f32_e32 v87, v51, v124
	ds_write2_b64 v85, v[126:127], v[106:107] offset0:82 offset1:251
	ds_write2_b64 v84, v[108:109], v[110:111] offset0:36 offset1:205
	;; [unrolled: 1-line block ×5, first 2 shown]
	ds_write_b64 v79, v[86:87] offset:16224
	s_waitcnt lgkmcnt(0)
	s_barrier
	buffer_gl0_inv
	ds_read2_b64 v[98:101], v79 offset1:169
	ds_read2_b64 v[91:94], v85 offset0:82 offset1:251
	ds_read2_b64 v[104:107], v84 offset0:36 offset1:205
	;; [unrolled: 1-line block ×5, first 2 shown]
	ds_read_b64 v[124:125], v79 offset:16224
	s_waitcnt lgkmcnt(0)
	s_barrier
	buffer_gl0_inv
	v_add_f32_e32 v48, v98, v100
	v_add_f32_e32 v49, v99, v101
	;; [unrolled: 1-line block ×3, first 2 shown]
	v_sub_f32_e32 v51, v104, v111
	v_add_f32_e32 v48, v48, v91
	v_add_f32_e32 v49, v49, v92
	;; [unrolled: 1-line block ×3, first 2 shown]
	v_sub_f32_e32 v127, v92, v123
	v_sub_f32_e32 v92, v101, v125
	v_add_f32_e32 v48, v48, v93
	v_add_f32_e32 v49, v49, v94
	;; [unrolled: 1-line block ×4, first 2 shown]
	v_sub_f32_e32 v91, v91, v122
	v_add_f32_e32 v48, v48, v104
	v_add_f32_e32 v49, v49, v105
	;; [unrolled: 1-line block ×4, first 2 shown]
	v_sub_f32_e32 v115, v105, v112
	v_add_f32_e32 v48, v48, v106
	v_add_f32_e32 v49, v49, v107
	;; [unrolled: 1-line block ×3, first 2 shown]
	v_sub_f32_e32 v114, v107, v110
	v_mul_f32_e32 v129, 0xbeb58ec6, v101
	v_add_f32_e32 v50, v48, v116
	v_add_f32_e32 v49, v49, v117
	;; [unrolled: 1-line block ×3, first 2 shown]
	v_mul_f32_e32 v131, 0xbf3f9e67, v101
	v_sub_f32_e32 v145, v117, v119
	v_add_f32_e32 v50, v50, v118
	v_add_f32_e32 v86, v49, v119
	;; [unrolled: 1-line block ×3, first 2 shown]
	v_mul_f32_e32 v146, 0x3f29c268, v115
	v_mul_f32_e32 v147, 0xbf3f9e67, v103
	v_add_f32_e32 v87, v50, v109
	v_add_f32_e32 v86, v86, v110
	v_sub_f32_e32 v50, v106, v109
	v_mul_f32_e32 v106, 0xbf29c268, v92
	v_mul_f32_e32 v148, 0x3f7e222b, v114
	v_add_f32_e32 v95, v87, v111
	v_add_f32_e32 v96, v86, v112
	;; [unrolled: 1-line block ×3, first 2 shown]
	v_sub_f32_e32 v87, v93, v120
	v_mul_f32_e32 v112, 0x3f116cb1, v101
	v_add_f32_e32 v93, v95, v120
	v_sub_f32_e32 v120, v94, v121
	v_add_f32_e32 v94, v96, v121
	v_add_f32_e32 v95, v124, v100
	v_mul_f32_e32 v96, 0xbeedf032, v92
	v_add_f32_e32 v121, v93, v122
	v_mul_f32_e32 v93, 0xbf52af12, v92
	;; [unrolled: 2-line block ×3, first 2 shown]
	v_fmamk_f32 v97, v95, 0x3f62ad3f, v96
	v_fma_f32 v96, 0x3f62ad3f, v95, -v96
	v_fmamk_f32 v102, v95, 0x3f116cb1, v93
	v_fma_f32 v104, 0x3f116cb1, v95, -v93
	v_mul_f32_e32 v93, 0xbf6f5d39, v92
	v_mul_f32_e32 v92, 0xbe750f2a, v92
	v_fmamk_f32 v105, v95, 0x3df6dbef, v94
	v_fma_f32 v94, 0x3df6dbef, v95, -v94
	v_fmamk_f32 v110, v95, 0xbf3f9e67, v106
	v_fmamk_f32 v107, v95, 0xbeb58ec6, v93
	v_fma_f32 v109, 0xbeb58ec6, v95, -v93
	v_sub_f32_e32 v93, v100, v124
	v_mul_f32_e32 v100, 0x3f62ad3f, v101
	v_fma_f32 v106, 0xbf3f9e67, v95, -v106
	v_fmamk_f32 v111, v95, 0xbf788fa5, v92
	v_fma_f32 v123, 0xbf788fa5, v95, -v92
	v_mul_f32_e32 v95, 0x3df6dbef, v101
	v_mul_f32_e32 v101, 0xbf788fa5, v101
	v_fmamk_f32 v92, v93, 0x3eedf032, v100
	v_fmac_f32_e32 v100, 0xbeedf032, v93
	v_fmamk_f32 v113, v93, 0x3f52af12, v112
	v_fmac_f32_e32 v112, 0xbf52af12, v93
	;; [unrolled: 2-line block ×6, first 2 shown]
	v_add_f32_e32 v93, v99, v100
	v_add_f32_e32 v143, v99, v101
	v_mul_f32_e32 v101, 0xbf52af12, v127
	v_mul_f32_e32 v100, 0x3f116cb1, v126
	v_add_f32_e32 v135, v98, v97
	v_add_f32_e32 v136, v99, v92
	;; [unrolled: 1-line block ×6, first 2 shown]
	v_fmamk_f32 v105, v90, 0x3f116cb1, v101
	v_mul_f32_e32 v104, 0xbf7e222b, v120
	v_fmamk_f32 v107, v91, 0x3f52af12, v100
	v_mul_f32_e32 v102, 0x3df6dbef, v128
	v_add_f32_e32 v92, v98, v96
	v_add_f32_e32 v138, v99, v113
	;; [unrolled: 1-line block ×9, first 2 shown]
	v_fmamk_f32 v110, v86, 0x3df6dbef, v104
	v_mul_f32_e32 v106, 0xbf6f5d39, v115
	v_add_f32_e32 v107, v107, v136
	v_fmamk_f32 v111, v87, 0x3f7e222b, v102
	v_mul_f32_e32 v105, 0xbeb58ec6, v103
	v_add_f32_e32 v130, v99, v130
	v_add_f32_e32 v94, v98, v94
	;; [unrolled: 1-line block ×9, first 2 shown]
	v_sub_f32_e32 v99, v116, v118
	v_add_f32_e32 v110, v110, v109
	v_fmamk_f32 v116, v48, 0xbeb58ec6, v106
	v_mul_f32_e32 v109, 0xbf29c268, v114
	v_add_f32_e32 v117, v111, v107
	v_fmamk_f32 v118, v51, 0x3f6f5d39, v105
	v_mul_f32_e32 v107, 0xbf3f9e67, v108
	;; [unrolled: 3-line block ×4, first 2 shown]
	v_add_f32_e32 v119, v119, v116
	v_fmamk_f32 v135, v98, 0xbf788fa5, v111
	v_add_f32_e32 v116, v121, v124
	v_add_f32_e32 v121, v118, v117
	v_fmamk_f32 v124, v99, 0x3e750f2a, v110
	v_add_f32_e32 v117, v122, v125
	v_mul_f32_e32 v122, 0xbf6f5d39, v127
	v_mul_f32_e32 v125, 0xbeb58ec6, v126
	v_add_f32_e32 v118, v135, v119
	v_add_f32_e32 v119, v124, v121
	v_mul_f32_e32 v135, 0xbe750f2a, v120
	v_fmamk_f32 v121, v90, 0xbeb58ec6, v122
	v_fmamk_f32 v124, v91, 0x3f6f5d39, v125
	v_mul_f32_e32 v136, 0xbf788fa5, v128
	v_mul_f32_e32 v149, 0x3df6dbef, v108
	ds_write2_b64 v89, v[116:117], v[118:119] offset1:1
	v_add_f32_e32 v121, v121, v137
	v_add_f32_e32 v124, v124, v138
	v_fmamk_f32 v137, v86, 0xbf788fa5, v135
	v_fmamk_f32 v138, v87, 0x3e750f2a, v136
	;; [unrolled: 1-line block ×4, first 2 shown]
	v_mul_f32_e32 v151, 0x3f6f5d39, v120
	v_add_f32_e32 v121, v137, v121
	v_add_f32_e32 v124, v138, v124
	v_fmamk_f32 v137, v48, 0xbf3f9e67, v146
	v_fmamk_f32 v138, v51, 0xbf29c268, v147
	v_mul_f32_e32 v152, 0xbeb58ec6, v128
	v_mul_f32_e32 v150, 0x3f62ad3f, v144
	;; [unrolled: 1-line block ×3, first 2 shown]
	v_add_f32_e32 v116, v137, v121
	v_add_f32_e32 v117, v138, v124
	v_mul_f32_e32 v137, 0xbe750f2a, v127
	v_mul_f32_e32 v138, 0xbf788fa5, v126
	;; [unrolled: 1-line block ×3, first 2 shown]
	v_add_f32_e32 v116, v118, v116
	v_add_f32_e32 v117, v119, v117
	v_fmamk_f32 v118, v90, 0xbf788fa5, v137
	v_fmamk_f32 v119, v91, 0x3e750f2a, v138
	v_mul_f32_e32 v154, 0x3f62ad3f, v103
	v_fmamk_f32 v121, v98, 0x3f62ad3f, v124
	v_fmamk_f32 v155, v99, 0xbeedf032, v150
	v_add_f32_e32 v118, v118, v139
	v_add_f32_e32 v119, v119, v130
	v_fmamk_f32 v130, v86, 0xbeb58ec6, v151
	v_fmamk_f32 v139, v87, 0xbf6f5d39, v152
	v_mul_f32_e32 v156, 0xbf52af12, v114
	v_mul_f32_e32 v157, 0x3f116cb1, v108
	v_add_f32_e32 v116, v121, v116
	v_add_f32_e32 v118, v130, v118
	;; [unrolled: 1-line block ×3, first 2 shown]
	v_fmamk_f32 v130, v48, 0x3f62ad3f, v153
	v_fmamk_f32 v139, v51, 0xbeedf032, v154
	;; [unrolled: 1-line block ×3, first 2 shown]
	v_add_f32_e32 v117, v155, v117
	v_mul_f32_e32 v155, 0x3f29c268, v127
	v_add_f32_e32 v118, v130, v118
	v_add_f32_e32 v119, v139, v119
	v_fmamk_f32 v130, v50, 0x3f52af12, v157
	v_mul_f32_e32 v139, 0xbf29c268, v145
	v_fmamk_f32 v158, v90, 0xbf3f9e67, v155
	v_add_f32_e32 v118, v121, v118
	v_mul_f32_e32 v159, 0xbf3f9e67, v126
	v_add_f32_e32 v119, v130, v119
	v_fmamk_f32 v121, v98, 0xbf3f9e67, v139
	v_mul_f32_e32 v130, 0xbf3f9e67, v144
	v_mul_f32_e32 v160, 0x3eedf032, v120
	v_add_f32_e32 v140, v158, v140
	v_fmamk_f32 v158, v91, 0xbf29c268, v159
	v_add_f32_e32 v118, v121, v118
	v_fmamk_f32 v121, v99, 0x3f29c268, v130
	v_fmamk_f32 v161, v86, 0x3f62ad3f, v160
	v_mul_f32_e32 v162, 0x3f62ad3f, v128
	v_mul_f32_e32 v163, 0xbf7e222b, v115
	;; [unrolled: 1-line block ×3, first 2 shown]
	v_add_f32_e32 v119, v121, v119
	v_add_f32_e32 v121, v158, v132
	;; [unrolled: 1-line block ×3, first 2 shown]
	v_fmamk_f32 v140, v87, 0xbeedf032, v162
	v_fmamk_f32 v158, v48, 0x3df6dbef, v163
	v_mul_f32_e32 v161, 0x3df6dbef, v103
	ds_write2_b64 v89, v[116:117], v[118:119] offset0:2 offset1:3
	v_fmamk_f32 v119, v49, 0xbf788fa5, v164
	v_add_f32_e32 v116, v140, v121
	v_add_f32_e32 v117, v158, v132
	v_fmamk_f32 v118, v51, 0x3f7e222b, v161
	v_mul_f32_e32 v132, 0xbf788fa5, v108
	v_mul_f32_e32 v140, 0x3f52af12, v145
	;; [unrolled: 1-line block ×3, first 2 shown]
	v_add_f32_e32 v117, v119, v117
	v_add_f32_e32 v116, v118, v116
	v_fmamk_f32 v118, v50, 0xbe750f2a, v132
	v_fmamk_f32 v119, v98, 0x3f116cb1, v140
	;; [unrolled: 1-line block ×3, first 2 shown]
	v_mul_f32_e32 v165, 0x3df6dbef, v126
	v_mul_f32_e32 v166, 0xbf52af12, v120
	v_add_f32_e32 v118, v118, v116
	v_add_f32_e32 v116, v119, v117
	;; [unrolled: 1-line block ×3, first 2 shown]
	v_fmamk_f32 v119, v91, 0xbf7e222b, v165
	v_fmamk_f32 v142, v86, 0x3f116cb1, v166
	v_mul_f32_e32 v158, 0x3f116cb1, v128
	v_mul_f32_e32 v167, 0x3e750f2a, v115
	;; [unrolled: 1-line block ×3, first 2 shown]
	v_add_f32_e32 v119, v119, v133
	v_add_f32_e32 v117, v142, v117
	v_fmamk_f32 v133, v87, 0x3f52af12, v158
	v_fmamk_f32 v142, v48, 0xbf788fa5, v167
	;; [unrolled: 1-line block ×3, first 2 shown]
	v_mul_f32_e32 v170, 0x3eedf032, v114
	v_mul_f32_e32 v169, 0xbf788fa5, v103
	v_add_f32_e32 v119, v133, v119
	v_add_f32_e32 v133, v142, v117
	;; [unrolled: 1-line block ×3, first 2 shown]
	v_mul_f32_e32 v118, 0x3eedf032, v127
	v_fmamk_f32 v172, v49, 0x3f62ad3f, v170
	v_mul_f32_e32 v126, 0x3f62ad3f, v126
	v_mul_f32_e32 v120, 0xbf29c268, v120
	v_fmamk_f32 v142, v51, 0xbe750f2a, v169
	v_fmamk_f32 v171, v90, 0x3f62ad3f, v118
	v_mul_f32_e32 v173, 0x3f62ad3f, v108
	v_add_f32_e32 v127, v172, v133
	v_fmamk_f32 v172, v86, 0xbf3f9e67, v120
	v_mul_f32_e32 v175, 0x3f52af12, v115
	v_add_f32_e32 v131, v171, v131
	v_fmamk_f32 v171, v91, 0xbeedf032, v126
	v_add_f32_e32 v119, v142, v119
	v_fmamk_f32 v133, v50, 0xbeedf032, v173
	v_mul_f32_e32 v142, 0xbf6f5d39, v145
	v_mul_f32_e32 v128, 0xbf3f9e67, v128
	v_add_f32_e32 v115, v171, v134
	v_add_f32_e32 v131, v172, v131
	v_fmamk_f32 v171, v48, 0x3f116cb1, v175
	v_mul_f32_e32 v172, 0xbf6f5d39, v114
	v_add_f32_e32 v119, v133, v119
	v_fmamk_f32 v133, v98, 0xbeb58ec6, v142
	v_mul_f32_e32 v174, 0xbeb58ec6, v144
	v_fmamk_f32 v134, v87, 0x3f29c268, v128
	v_mul_f32_e32 v103, 0x3f116cb1, v103
	v_add_f32_e32 v131, v171, v131
	v_fmamk_f32 v171, v49, 0xbeb58ec6, v172
	v_fmamk_f32 v176, v99, 0x3f6f5d39, v174
	v_add_f32_e32 v134, v134, v115
	v_fmamk_f32 v177, v51, 0xbf52af12, v103
	v_add_f32_e32 v114, v133, v127
	v_mul_f32_e32 v108, 0xbeb58ec6, v108
	v_add_f32_e32 v127, v171, v131
	v_mul_f32_e32 v131, 0x3f7e222b, v145
	v_add_f32_e32 v115, v176, v119
	v_add_f32_e32 v119, v177, v134
	v_fma_f32 v118, 0x3f62ad3f, v90, -v118
	v_fmac_f32_e32 v126, 0x3eedf032, v91
	v_fmamk_f32 v133, v50, 0x3f6f5d39, v108
	v_mul_f32_e32 v134, 0x3df6dbef, v144
	v_fmamk_f32 v144, v98, 0x3df6dbef, v131
	v_add_f32_e32 v123, v118, v123
	v_add_f32_e32 v126, v126, v143
	v_fma_f32 v120, 0xbf3f9e67, v86, -v120
	v_fmac_f32_e32 v128, 0xbf29c268, v87
	v_add_f32_e32 v119, v133, v119
	v_add_f32_e32 v118, v144, v127
	v_fmamk_f32 v127, v99, 0xbf7e222b, v134
	v_add_f32_e32 v120, v120, v123
	v_add_f32_e32 v123, v128, v126
	v_fma_f32 v126, 0x3f116cb1, v48, -v175
	v_fmac_f32_e32 v103, 0x3f52af12, v51
	v_add_f32_e32 v119, v127, v119
	v_fma_f32 v127, 0xbf3f9e67, v90, -v155
	v_fmac_f32_e32 v159, 0x3f29c268, v91
	v_add_f32_e32 v120, v126, v120
	v_add_f32_e32 v103, v103, v123
	v_fma_f32 v123, 0xbeb58ec6, v49, -v172
	v_add_f32_e32 v126, v127, v141
	v_add_f32_e32 v127, v159, v129
	v_fma_f32 v128, 0x3f62ad3f, v86, -v160
	v_fmac_f32_e32 v162, 0x3eedf032, v87
	v_add_f32_e32 v120, v123, v120
	v_fmac_f32_e32 v108, 0xbf6f5d39, v50
	v_fma_f32 v123, 0x3df6dbef, v98, -v131
	v_add_f32_e32 v126, v128, v126
	v_add_f32_e32 v127, v162, v127
	v_fma_f32 v128, 0x3df6dbef, v48, -v163
	v_fmac_f32_e32 v161, 0xbf7e222b, v51
	v_add_f32_e32 v103, v108, v103
	v_fmac_f32_e32 v134, 0x3f7e222b, v99
	v_add_f32_e32 v120, v123, v120
	v_add_f32_e32 v108, v128, v126
	;; [unrolled: 1-line block ×3, first 2 shown]
	v_fma_f32 v126, 0xbf788fa5, v49, -v164
	v_fmac_f32_e32 v132, 0x3e750f2a, v50
	v_fma_f32 v127, 0x3df6dbef, v90, -v121
	v_fmac_f32_e32 v165, 0x3f7e222b, v91
	v_add_f32_e32 v121, v134, v103
	v_add_f32_e32 v103, v126, v108
	v_add_f32_e32 v108, v132, v123
	v_add_f32_e32 v113, v127, v113
	v_fma_f32 v123, 0x3f116cb1, v86, -v166
	v_add_f32_e32 v112, v165, v112
	v_fmac_f32_e32 v158, 0xbf52af12, v87
	v_fmac_f32_e32 v168, 0x3f52af12, v99
	;; [unrolled: 1-line block ×3, first 2 shown]
	v_add_f32_e32 v123, v123, v113
	v_fma_f32 v126, 0x3f116cb1, v98, -v140
	v_add_f32_e32 v128, v158, v112
	v_add_f32_e32 v113, v168, v108
	v_fma_f32 v108, 0xbeb58ec6, v90, -v122
	v_fma_f32 v127, 0xbf788fa5, v48, -v167
	v_fmac_f32_e32 v173, 0x3eedf032, v50
	v_add_f32_e32 v122, v169, v128
	v_add_f32_e32 v112, v126, v103
	;; [unrolled: 1-line block ×3, first 2 shown]
	v_fma_f32 v108, 0xbf788fa5, v86, -v135
	v_add_f32_e32 v103, v127, v123
	v_fma_f32 v123, 0x3f62ad3f, v49, -v170
	v_fmac_f32_e32 v125, 0xbf6f5d39, v91
	v_add_f32_e32 v122, v173, v122
	v_add_f32_e32 v97, v108, v97
	v_fma_f32 v108, 0xbf3f9e67, v48, -v146
	v_fmac_f32_e32 v174, 0xbf6f5d39, v99
	v_add_f32_e32 v103, v123, v103
	v_add_f32_e32 v96, v125, v96
	v_fmac_f32_e32 v136, 0xbe750f2a, v87
	v_fma_f32 v123, 0xbeb58ec6, v98, -v142
	v_add_f32_e32 v108, v108, v97
	v_add_f32_e32 v97, v174, v122
	v_fma_f32 v122, 0xbf788fa5, v90, -v137
	v_fmac_f32_e32 v138, 0xbe750f2a, v91
	v_fma_f32 v90, 0x3f116cb1, v90, -v101
	v_fmac_f32_e32 v100, 0xbf52af12, v91
	v_add_f32_e32 v125, v136, v96
	v_add_f32_e32 v96, v123, v103
	v_fma_f32 v123, 0x3f62ad3f, v98, -v124
	v_add_f32_e32 v122, v122, v94
	v_add_f32_e32 v95, v138, v95
	v_fma_f32 v124, 0xbeb58ec6, v86, -v151
	v_fmac_f32_e32 v152, 0x3f6f5d39, v87
	v_add_f32_e32 v90, v90, v92
	v_add_f32_e32 v92, v100, v93
	v_fma_f32 v86, 0x3df6dbef, v86, -v104
	v_fmac_f32_e32 v102, 0xbf7e222b, v87
	v_fmac_f32_e32 v147, 0x3f29c268, v51
	v_add_f32_e32 v91, v124, v122
	v_add_f32_e32 v95, v152, v95
	v_fma_f32 v101, 0x3f62ad3f, v48, -v153
	v_fmac_f32_e32 v154, 0x3eedf032, v51
	v_add_f32_e32 v86, v86, v90
	v_add_f32_e32 v90, v102, v92
	v_fma_f32 v48, 0xbeb58ec6, v48, -v106
	v_fmac_f32_e32 v105, 0xbf6f5d39, v51
	v_fma_f32 v126, 0x3df6dbef, v49, -v148
	v_add_f32_e32 v103, v147, v125
	v_fmac_f32_e32 v149, 0x3f7e222b, v50
	v_add_f32_e32 v87, v101, v91
	v_fma_f32 v91, 0x3f116cb1, v49, -v156
	v_add_f32_e32 v51, v154, v95
	v_fmac_f32_e32 v157, 0xbf52af12, v50
	v_add_f32_e32 v48, v48, v86
	v_add_f32_e32 v86, v105, v90
	v_fma_f32 v49, 0xbf3f9e67, v49, -v109
	v_fmac_f32_e32 v107, 0xbf29c268, v50
	v_add_f32_e32 v108, v126, v108
	v_add_f32_e32 v103, v149, v103
	v_fmac_f32_e32 v150, 0x3eedf032, v99
	v_add_f32_e32 v87, v91, v87
	v_add_f32_e32 v50, v157, v51
	v_fma_f32 v51, 0xbf3f9e67, v98, -v139
	v_fmac_f32_e32 v130, 0xbf29c268, v99
	v_add_f32_e32 v90, v49, v48
	v_add_f32_e32 v86, v107, v86
	v_fma_f32 v91, 0xbf788fa5, v98, -v111
	v_fmac_f32_e32 v110, 0xbe750f2a, v99
	v_add_f32_e32 v94, v123, v108
	v_add_f32_e32 v95, v150, v103
	;; [unrolled: 1-line block ×6, first 2 shown]
	ds_write2_b64 v89, v[116:117], v[114:115] offset0:4 offset1:5
	ds_write2_b64 v89, v[118:119], v[120:121] offset0:6 offset1:7
	;; [unrolled: 1-line block ×4, first 2 shown]
	ds_write_b64 v89, v[50:51] offset:96
	s_waitcnt lgkmcnt(0)
	s_barrier
	buffer_gl0_inv
	ds_read_b64 v[86:87], v79 offset:16224
	ds_read2_b64 v[48:51], v81 offset0:26 offset1:195
	ds_read2_b64 v[91:94], v82 offset0:72 offset1:241
	;; [unrolled: 1-line block ×4, first 2 shown]
	s_waitcnt lgkmcnt(4)
	v_mul_f32_e32 v90, v23, v87
	v_mul_f32_e32 v23, v23, v86
	s_waitcnt lgkmcnt(2)
	v_mul_f32_e32 v107, v17, v94
	s_waitcnt lgkmcnt(1)
	v_mul_f32_e32 v100, v11, v96
	v_mul_f32_e32 v11, v11, v95
	v_fmac_f32_e32 v90, v22, v86
	v_fma_f32 v22, v22, v87, -v23
	v_mul_f32_e32 v23, v21, v51
	v_mul_f32_e32 v21, v21, v50
	;; [unrolled: 1-line block ×4, first 2 shown]
	s_waitcnt lgkmcnt(0)
	v_mul_f32_e32 v111, v9, v106
	v_fmac_f32_e32 v23, v20, v50
	v_fma_f32 v108, v20, v51, -v21
	v_fmac_f32_e32 v86, v18, v48
	v_fma_f32 v109, v18, v49, -v19
	ds_read2_b64 v[48:51], v79 offset1:169
	v_mul_f32_e32 v21, v17, v93
	ds_read2_b64 v[17:20], v85 offset0:82 offset1:251
	v_mul_f32_e32 v9, v9, v105
	v_fma_f32 v102, v10, v96, -v11
	v_fmac_f32_e32 v111, v8, v105
	v_mul_f32_e32 v99, v13, v98
	v_mul_f32_e32 v13, v13, v97
	v_fma_f32 v96, v8, v106, -v9
	v_fmac_f32_e32 v107, v16, v93
	v_mul_f32_e32 v110, v15, v92
	v_fmac_f32_e32 v99, v12, v97
	v_fma_f32 v101, v12, v98, -v13
	v_mul_f32_e32 v15, v15, v91
	v_fma_f32 v93, v16, v94, -v21
	v_fmac_f32_e32 v100, v10, v95
	v_mul_f32_e32 v95, v7, v104
	v_mul_f32_e32 v7, v7, v103
	v_fmac_f32_e32 v110, v14, v91
	v_fma_f32 v94, v14, v92, -v15
	s_waitcnt lgkmcnt(1)
	v_mul_f32_e32 v8, v1, v50
	v_mul_f32_e32 v1, v1, v51
	s_waitcnt lgkmcnt(0)
	v_mul_f32_e32 v12, v5, v20
	v_mul_f32_e32 v5, v5, v19
	;; [unrolled: 1-line block ×3, first 2 shown]
	v_fma_f32 v8, v0, v51, -v8
	v_fmac_f32_e32 v1, v0, v50
	v_fmac_f32_e32 v12, v4, v19
	v_fma_f32 v13, v4, v20, -v5
	v_mul_f32_e32 v3, v3, v17
	v_sub_f32_e32 v0, v8, v22
	v_add_f32_e32 v4, v1, v90
	v_add_f32_e32 v16, v8, v22
	v_fmac_f32_e32 v95, v6, v103
	v_fma_f32 v51, v6, v104, -v7
	v_mul_f32_e32 v5, 0xbeedf032, v0
	v_fmac_f32_e32 v11, v2, v17
	v_mul_f32_e32 v6, 0xbf52af12, v0
	v_fma_f32 v2, v2, v18, -v3
	v_mul_f32_e32 v3, 0xbf7e222b, v0
	v_fmamk_f32 v7, v4, 0x3f62ad3f, v5
	v_mul_f32_e32 v14, 0xbf6f5d39, v0
	v_mul_f32_e32 v15, 0xbf29c268, v0
	;; [unrolled: 1-line block ×3, first 2 shown]
	v_sub_f32_e32 v18, v1, v90
	v_mul_f32_e32 v19, 0x3f62ad3f, v16
	v_add_f32_e32 v1, v48, v1
	v_add_f32_e32 v8, v49, v8
	v_fma_f32 v5, 0x3f62ad3f, v4, -v5
	v_fmamk_f32 v9, v4, 0x3f116cb1, v6
	v_fma_f32 v6, 0x3f116cb1, v4, -v6
	v_fmamk_f32 v10, v4, 0x3df6dbef, v3
	;; [unrolled: 2-line block ×6, first 2 shown]
	v_add_f32_e32 v1, v1, v11
	v_add_f32_e32 v114, v48, v7
	v_add_f32_e32 v7, v8, v2
	v_mul_f32_e32 v20, 0x3f116cb1, v16
	v_add_f32_e32 v115, v49, v0
	v_add_f32_e32 v0, v48, v5
	;; [unrolled: 1-line block ×4, first 2 shown]
	v_fmamk_f32 v21, v18, 0x3f52af12, v20
	v_add_f32_e32 v89, v48, v6
	v_fmac_f32_e32 v19, 0xbeedf032, v18
	v_add_f32_e32 v5, v5, v95
	v_add_f32_e32 v6, v7, v51
	;; [unrolled: 1-line block ×4, first 2 shown]
	v_mul_f32_e32 v97, 0xbeb58ec6, v16
	v_add_f32_e32 v5, v5, v111
	v_add_f32_e32 v3, v6, v96
	v_mul_f32_e32 v92, 0x3df6dbef, v16
	v_mul_f32_e32 v105, 0xbf3f9e67, v16
	;; [unrolled: 1-line block ×3, first 2 shown]
	v_add_f32_e32 v5, v5, v100
	v_add_f32_e32 v3, v3, v102
	v_fmamk_f32 v16, v18, 0x3f6f5d39, v97
	v_fmac_f32_e32 v97, 0xbf6f5d39, v18
	v_add_f32_e32 v1, v49, v19
	v_add_f32_e32 v5, v5, v99
	;; [unrolled: 1-line block ×4, first 2 shown]
	v_sub_f32_e32 v14, v2, v108
	v_fmac_f32_e32 v20, 0xbf52af12, v18
	v_add_f32_e32 v5, v5, v110
	v_add_f32_e32 v3, v3, v94
	v_fmamk_f32 v98, v18, 0x3f7e222b, v92
	v_fmac_f32_e32 v92, 0xbf7e222b, v18
	v_fmamk_f32 v112, v18, 0x3f29c268, v105
	v_add_f32_e32 v5, v5, v107
	v_add_f32_e32 v3, v3, v93
	v_fmac_f32_e32 v105, 0xbf29c268, v18
	v_fmamk_f32 v113, v18, 0x3e750f2a, v106
	v_fmac_f32_e32 v106, 0xbe750f2a, v18
	v_add_f32_e32 v116, v48, v9
	v_add_f32_e32 v118, v48, v10
	;; [unrolled: 1-line block ×13, first 2 shown]
	v_mul_f32_e32 v5, 0xbf52af12, v14
	v_add_f32_e32 v119, v49, v98
	v_add_f32_e32 v98, v49, v112
	v_sub_f32_e32 v4, v11, v23
	v_mul_f32_e32 v2, 0x3f116cb1, v10
	v_add_f32_e32 v112, v15, v23
	v_add_f32_e32 v108, v48, v108
	v_sub_f32_e32 v48, v13, v109
	v_fmamk_f32 v15, v3, 0x3f116cb1, v5
	v_add_f32_e32 v23, v13, v109
	v_add_f32_e32 v87, v49, v20
	;; [unrolled: 1-line block ×6, first 2 shown]
	v_fmamk_f32 v49, v4, 0x3f52af12, v2
	v_add_f32_e32 v11, v12, v86
	v_mul_f32_e32 v13, 0xbf7e222b, v48
	v_add_f32_e32 v105, v15, v114
	v_sub_f32_e32 v15, v12, v86
	v_mul_f32_e32 v12, 0x3df6dbef, v23
	v_add_f32_e32 v91, v51, v93
	v_add_f32_e32 v106, v49, v115
	v_fmamk_f32 v109, v11, 0x3df6dbef, v13
	v_sub_f32_e32 v92, v51, v93
	v_fmamk_f32 v93, v15, 0x3f7e222b, v12
	v_sub_f32_e32 v51, v95, v107
	v_mul_f32_e32 v49, 0xbeb58ec6, v91
	v_add_f32_e32 v50, v95, v107
	v_mul_f32_e32 v86, 0xbf6f5d39, v92
	v_add_f32_e32 v107, v109, v105
	v_add_f32_e32 v109, v93, v106
	v_sub_f32_e32 v106, v96, v94
	v_fmamk_f32 v114, v51, 0x3f6f5d39, v49
	v_add_f32_e32 v105, v96, v94
	v_fmamk_f32 v113, v50, 0xbeb58ec6, v86
	v_add_f32_e32 v93, v111, v110
	v_mul_f32_e32 v95, 0xbf29c268, v106
	v_sub_f32_e32 v96, v111, v110
	v_mul_f32_e32 v94, 0xbf3f9e67, v105
	v_add_f32_e32 v109, v114, v109
	v_sub_f32_e32 v111, v102, v101
	v_add_f32_e32 v114, v102, v101
	v_add_f32_e32 v113, v113, v107
	v_fmamk_f32 v110, v93, 0xbf3f9e67, v95
	v_fmamk_f32 v115, v96, 0x3f29c268, v94
	v_add_f32_e32 v101, v100, v99
	v_sub_f32_e32 v100, v100, v99
	v_mul_f32_e32 v102, 0xbe750f2a, v111
	v_mul_f32_e32 v99, 0xbf788fa5, v114
	v_add_f32_e32 v107, v112, v90
	v_add_f32_e32 v90, v110, v113
	v_add_f32_e32 v110, v115, v109
	v_fmamk_f32 v109, v101, 0xbf788fa5, v102
	v_fmamk_f32 v112, v100, 0x3e750f2a, v99
	v_mul_f32_e32 v113, 0xbf6f5d39, v14
	v_mul_f32_e32 v115, 0xbeb58ec6, v10
	v_add_f32_e32 v108, v108, v22
	v_add_f32_e32 v109, v109, v90
	;; [unrolled: 1-line block ×3, first 2 shown]
	v_fmamk_f32 v22, v3, 0xbeb58ec6, v113
	v_fmamk_f32 v90, v4, 0x3f6f5d39, v115
	v_mul_f32_e32 v112, 0xbe750f2a, v48
	v_mul_f32_e32 v120, 0xbf788fa5, v23
	;; [unrolled: 1-line block ×3, first 2 shown]
	v_add_f32_e32 v22, v22, v116
	v_add_f32_e32 v90, v90, v117
	v_fmamk_f32 v116, v11, 0xbf788fa5, v112
	v_fmamk_f32 v117, v15, 0x3e750f2a, v120
	v_mul_f32_e32 v122, 0xbf3f9e67, v91
	v_mul_f32_e32 v123, 0x3f7e222b, v106
	v_mul_f32_e32 v124, 0x3df6dbef, v105
	v_add_f32_e32 v22, v116, v22
	v_add_f32_e32 v90, v117, v90
	v_fmamk_f32 v116, v50, 0xbf3f9e67, v121
	v_fmamk_f32 v117, v51, 0xbf29c268, v122
	;; [unrolled: 1-line block ×3, first 2 shown]
	v_mul_f32_e32 v126, 0xbe750f2a, v14
	v_add_f32_e32 v22, v116, v22
	v_add_f32_e32 v90, v117, v90
	v_fmamk_f32 v116, v93, 0x3df6dbef, v123
	v_mul_f32_e32 v117, 0x3eedf032, v111
	s_barrier
	buffer_gl0_inv
	ds_write2_b64 v88, v[107:108], v[109:110] offset1:13
	v_add_f32_e32 v22, v116, v22
	v_fmamk_f32 v107, v101, 0x3f62ad3f, v117
	v_add_f32_e32 v90, v125, v90
	v_fmamk_f32 v108, v3, 0xbf788fa5, v126
	v_mul_f32_e32 v116, 0xbf788fa5, v10
	v_mul_f32_e32 v125, 0x3f6f5d39, v48
	v_add_f32_e32 v107, v107, v22
	v_mul_f32_e32 v22, 0x3f62ad3f, v114
	v_add_f32_e32 v108, v108, v118
	v_fmamk_f32 v109, v4, 0x3e750f2a, v116
	v_fmamk_f32 v110, v11, 0xbeb58ec6, v125
	v_mul_f32_e32 v118, 0xbeb58ec6, v23
	v_mul_f32_e32 v127, 0x3eedf032, v92
	v_fmamk_f32 v128, v100, 0xbeedf032, v22
	v_add_f32_e32 v109, v109, v119
	v_add_f32_e32 v110, v110, v108
	v_fmamk_f32 v119, v15, 0xbf6f5d39, v118
	v_fmamk_f32 v129, v50, 0x3f62ad3f, v127
	v_mul_f32_e32 v130, 0x3f62ad3f, v91
	v_mul_f32_e32 v131, 0xbf52af12, v106
	v_add_f32_e32 v108, v128, v90
	v_add_f32_e32 v90, v119, v109
	;; [unrolled: 1-line block ×3, first 2 shown]
	v_fmamk_f32 v110, v51, 0xbeedf032, v130
	v_fmamk_f32 v119, v93, 0x3f116cb1, v131
	v_mul_f32_e32 v128, 0x3f116cb1, v105
	v_mul_f32_e32 v129, 0xbf29c268, v111
	;; [unrolled: 1-line block ×3, first 2 shown]
	v_add_f32_e32 v90, v110, v90
	v_add_f32_e32 v109, v119, v109
	v_fmamk_f32 v110, v96, 0x3f52af12, v128
	v_fmamk_f32 v119, v101, 0xbf3f9e67, v129
	;; [unrolled: 1-line block ×3, first 2 shown]
	v_mul_f32_e32 v134, 0xbf3f9e67, v10
	v_mul_f32_e32 v135, 0x3eedf032, v48
	v_add_f32_e32 v90, v110, v90
	v_add_f32_e32 v109, v119, v109
	;; [unrolled: 1-line block ×3, first 2 shown]
	v_fmamk_f32 v110, v4, 0xbf29c268, v134
	v_fmamk_f32 v119, v11, 0x3f62ad3f, v135
	v_mul_f32_e32 v133, 0x3f62ad3f, v23
	v_mul_f32_e32 v136, 0xbf7e222b, v92
	;; [unrolled: 1-line block ×3, first 2 shown]
	v_add_f32_e32 v103, v110, v103
	v_add_f32_e32 v104, v119, v104
	v_fmamk_f32 v110, v15, 0xbeedf032, v133
	v_fmamk_f32 v119, v50, 0x3df6dbef, v136
	v_mul_f32_e32 v138, 0x3df6dbef, v91
	v_mul_f32_e32 v139, 0x3e750f2a, v106
	v_fmamk_f32 v140, v100, 0x3f29c268, v137
	v_add_f32_e32 v103, v110, v103
	v_add_f32_e32 v104, v119, v104
	v_fmamk_f32 v119, v51, 0x3f7e222b, v138
	v_fmamk_f32 v141, v93, 0xbf788fa5, v139
	v_mul_f32_e32 v142, 0xbf788fa5, v105
	v_mul_f32_e32 v143, 0x3f52af12, v111
	v_add_f32_e32 v110, v140, v90
	v_add_f32_e32 v90, v119, v103
	;; [unrolled: 1-line block ×3, first 2 shown]
	v_fmamk_f32 v104, v96, 0xbe750f2a, v142
	v_mul_f32_e32 v119, 0x3f7e222b, v14
	v_mul_f32_e32 v140, 0x3df6dbef, v10
	v_fmamk_f32 v141, v101, 0x3f116cb1, v143
	ds_write2_b64 v88, v[107:108], v[109:110] offset0:26 offset1:39
	v_add_f32_e32 v90, v104, v90
	v_fmamk_f32 v104, v3, 0x3df6dbef, v119
	v_fmamk_f32 v107, v4, 0xbf7e222b, v140
	v_mul_f32_e32 v108, 0xbf52af12, v48
	v_mul_f32_e32 v109, 0x3f116cb1, v23
	v_add_f32_e32 v103, v141, v103
	v_add_f32_e32 v97, v104, v97
	;; [unrolled: 1-line block ×3, first 2 shown]
	v_fmamk_f32 v104, v11, 0x3f116cb1, v108
	v_fmamk_f32 v107, v15, 0x3f52af12, v109
	v_mul_f32_e32 v110, 0x3e750f2a, v92
	v_mul_f32_e32 v141, 0x3f116cb1, v114
	;; [unrolled: 1-line block ×3, first 2 shown]
	v_add_f32_e32 v97, v104, v97
	v_add_f32_e32 v98, v107, v98
	v_fmamk_f32 v104, v50, 0xbf788fa5, v110
	v_mul_f32_e32 v107, 0x3eedf032, v106
	v_fmamk_f32 v147, v100, 0xbf52af12, v141
	v_fmamk_f32 v145, v51, 0xbe750f2a, v144
	v_mul_f32_e32 v146, 0x3f62ad3f, v105
	v_add_f32_e32 v97, v104, v97
	v_fmamk_f32 v148, v93, 0x3f62ad3f, v107
	v_add_f32_e32 v104, v147, v90
	v_fma_f32 v90, 0xbeb58ec6, v3, -v113
	v_fmac_f32_e32 v115, 0xbf6f5d39, v4
	v_mul_f32_e32 v113, 0xbf6f5d39, v111
	v_add_f32_e32 v98, v145, v98
	v_fmamk_f32 v145, v96, 0xbeedf032, v146
	v_add_f32_e32 v97, v148, v97
	v_add_f32_e32 v89, v90, v89
	v_fma_f32 v90, 0xbf788fa5, v11, -v112
	v_add_f32_e32 v87, v115, v87
	v_fmamk_f32 v112, v101, 0xbeb58ec6, v113
	v_mul_f32_e32 v115, 0xbeb58ec6, v114
	v_add_f32_e32 v98, v145, v98
	v_fmac_f32_e32 v120, 0xbe750f2a, v15
	v_add_f32_e32 v90, v90, v89
	v_fma_f32 v121, 0xbf3f9e67, v50, -v121
	v_add_f32_e32 v89, v112, v97
	v_fmamk_f32 v97, v100, 0x3f6f5d39, v115
	v_add_f32_e32 v87, v120, v87
	v_fmac_f32_e32 v122, 0x3f29c268, v51
	v_add_f32_e32 v112, v121, v90
	v_fma_f32 v120, 0x3df6dbef, v93, -v123
	v_add_f32_e32 v90, v97, v98
	v_fma_f32 v97, 0xbf788fa5, v3, -v126
	v_fmac_f32_e32 v116, 0xbe750f2a, v4
	v_add_f32_e32 v87, v122, v87
	v_fmac_f32_e32 v124, 0x3f7e222b, v96
	v_add_f32_e32 v98, v120, v112
	v_fma_f32 v112, 0x3f62ad3f, v101, -v117
	v_add_f32_e32 v21, v97, v21
	v_fma_f32 v97, 0xbeb58ec6, v11, -v125
	v_add_f32_e32 v116, v116, v20
	v_fmac_f32_e32 v118, 0x3f6f5d39, v15
	v_add_f32_e32 v87, v124, v87
	v_fmac_f32_e32 v22, 0x3eedf032, v100
	v_add_f32_e32 v20, v112, v98
	v_add_f32_e32 v97, v97, v21
	v_fma_f32 v98, 0x3f62ad3f, v50, -v127
	v_add_f32_e32 v112, v118, v116
	v_fmac_f32_e32 v130, 0x3eedf032, v51
	v_fma_f32 v116, 0xbf3f9e67, v3, -v132
	v_add_f32_e32 v21, v22, v87
	v_add_f32_e32 v22, v98, v97
	v_fma_f32 v87, 0x3f116cb1, v93, -v131
	v_add_f32_e32 v97, v130, v112
	v_add_f32_e32 v19, v116, v19
	v_fmac_f32_e32 v134, 0x3f29c268, v4
	v_fma_f32 v98, 0x3f62ad3f, v11, -v135
	v_fmac_f32_e32 v128, 0xbf52af12, v96
	v_add_f32_e32 v22, v87, v22
	v_fma_f32 v87, 0xbf3f9e67, v101, -v129
	v_add_f32_e32 v112, v134, v18
	v_add_f32_e32 v19, v98, v19
	v_fmac_f32_e32 v133, 0x3eedf032, v15
	v_fma_f32 v98, 0x3df6dbef, v50, -v136
	v_add_f32_e32 v97, v128, v97
	v_fmac_f32_e32 v137, 0xbf29c268, v100
	v_add_f32_e32 v18, v87, v22
	v_add_f32_e32 v22, v133, v112
	;; [unrolled: 1-line block ×3, first 2 shown]
	v_fmac_f32_e32 v138, 0xbf7e222b, v51
	v_add_f32_e32 v19, v137, v97
	v_fma_f32 v97, 0x3df6dbef, v3, -v119
	v_fmac_f32_e32 v140, 0x3f7e222b, v4
	v_fma_f32 v98, 0xbf788fa5, v93, -v139
	v_add_f32_e32 v22, v138, v22
	v_fmac_f32_e32 v142, 0x3e750f2a, v96
	v_add_f32_e32 v16, v97, v16
	v_add_f32_e32 v17, v140, v17
	v_fma_f32 v97, 0x3f116cb1, v11, -v108
	v_fmac_f32_e32 v109, 0xbf52af12, v15
	v_add_f32_e32 v87, v98, v87
	v_add_f32_e32 v22, v142, v22
	v_fma_f32 v98, 0x3f116cb1, v101, -v143
	;; [unrolled: 4-line block ×3, first 2 shown]
	v_mul_f32_e32 v14, 0x3eedf032, v14
	v_add_f32_e32 v16, v98, v87
	v_add_f32_e32 v17, v141, v22
	v_mul_f32_e32 v10, 0x3f62ad3f, v10
	v_add_f32_e32 v22, v109, v97
	v_fma_f32 v97, 0x3f62ad3f, v93, -v107
	v_fmamk_f32 v98, v3, 0x3f62ad3f, v14
	v_mul_f32_e32 v48, 0xbf29c268, v48
	v_mul_f32_e32 v107, 0xbf3f9e67, v23
	;; [unrolled: 1-line block ×3, first 2 shown]
	v_add_f32_e32 v22, v97, v22
	v_add_f32_e32 v9, v98, v9
	v_fmamk_f32 v97, v4, 0xbeedf032, v10
	v_fmamk_f32 v98, v11, 0xbf3f9e67, v48
	v_fma_f32 v14, 0x3f62ad3f, v3, -v14
	v_fmac_f32_e32 v10, 0x3eedf032, v4
	v_fma_f32 v3, 0x3f116cb1, v3, -v5
	v_fmac_f32_e32 v2, 0xbf52af12, v4
	v_fmac_f32_e32 v144, 0x3e750f2a, v51
	v_add_f32_e32 v8, v97, v8
	v_add_f32_e32 v9, v98, v9
	v_fmamk_f32 v97, v15, 0x3f29c268, v107
	v_fmamk_f32 v98, v50, 0x3f116cb1, v92
	v_mul_f32_e32 v91, 0x3f116cb1, v91
	v_mul_f32_e32 v106, 0xbf6f5d39, v106
	v_add_f32_e32 v6, v14, v6
	v_add_f32_e32 v7, v10, v7
	v_fma_f32 v10, 0xbf3f9e67, v11, -v48
	v_fmac_f32_e32 v107, 0xbf29c268, v15
	v_add_f32_e32 v0, v3, v0
	v_add_f32_e32 v1, v2, v1
	v_fma_f32 v2, 0x3df6dbef, v11, -v13
	v_fmac_f32_e32 v12, 0xbf7e222b, v15
	v_add_f32_e32 v87, v144, v108
	v_fma_f32 v23, 0xbeb58ec6, v101, -v113
	v_add_f32_e32 v97, v97, v8
	v_add_f32_e32 v9, v98, v9
	v_fmamk_f32 v98, v51, 0xbf52af12, v91
	v_fmamk_f32 v108, v93, 0xbeb58ec6, v106
	v_mul_f32_e32 v105, 0xbeb58ec6, v105
	v_mul_f32_e32 v109, 0x3f7e222b, v111
	v_add_f32_e32 v4, v10, v6
	v_add_f32_e32 v5, v107, v7
	v_fma_f32 v6, 0x3f116cb1, v50, -v92
	v_fmac_f32_e32 v91, 0x3f52af12, v51
	v_add_f32_e32 v0, v2, v0
	v_add_f32_e32 v1, v12, v1
	v_fma_f32 v2, 0xbeb58ec6, v50, -v86
	v_fmac_f32_e32 v49, 0xbf6f5d39, v51
	v_add_f32_e32 v8, v23, v22
	v_add_f32_e32 v22, v98, v97
	;; [unrolled: 1-line block ×3, first 2 shown]
	v_fmamk_f32 v23, v96, 0x3f6f5d39, v105
	v_fmamk_f32 v97, v101, 0x3df6dbef, v109
	v_mul_f32_e32 v98, 0x3df6dbef, v114
	v_add_f32_e32 v3, v6, v4
	v_fma_f32 v4, 0xbeb58ec6, v93, -v106
	v_add_f32_e32 v5, v91, v5
	v_fmac_f32_e32 v105, 0xbf6f5d39, v96
	v_fmac_f32_e32 v146, 0x3eedf032, v96
	v_add_f32_e32 v0, v2, v0
	v_add_f32_e32 v1, v49, v1
	v_fma_f32 v2, 0xbf3f9e67, v93, -v95
	v_fmac_f32_e32 v94, 0xbf29c268, v96
	v_add_f32_e32 v23, v23, v22
	v_add_f32_e32 v22, v97, v9
	v_fmamk_f32 v9, v100, 0xbf7e222b, v98
	v_add_f32_e32 v3, v4, v3
	v_add_f32_e32 v4, v105, v5
	v_fma_f32 v5, 0x3df6dbef, v101, -v109
	v_fmac_f32_e32 v98, 0x3f7e222b, v100
	v_add_f32_e32 v87, v146, v87
	v_fmac_f32_e32 v115, 0xbf6f5d39, v100
	v_add_f32_e32 v2, v2, v0
	v_add_f32_e32 v6, v94, v1
	v_fma_f32 v7, 0xbf788fa5, v101, -v102
	v_fmac_f32_e32 v99, 0xbe750f2a, v100
	v_add_f32_e32 v23, v9, v23
	v_add_f32_e32 v0, v5, v3
	;; [unrolled: 1-line block ×6, first 2 shown]
	ds_write2_b64 v88, v[103:104], v[89:90] offset0:52 offset1:65
	ds_write2_b64 v88, v[22:23], v[0:1] offset0:78 offset1:91
	;; [unrolled: 1-line block ×4, first 2 shown]
	ds_write_b64 v88, v[2:3] offset:1248
	s_waitcnt lgkmcnt(0)
	s_barrier
	buffer_gl0_inv
	ds_read2_b64 v[0:3], v79 offset1:169
	ds_read2_b64 v[4:7], v85 offset0:82 offset1:251
	ds_read2_b64 v[11:14], v84 offset0:36 offset1:205
	ds_read2_b64 v[15:18], v83 offset0:54 offset1:223
	ds_read2_b64 v[19:22], v82 offset0:72 offset1:241
	s_waitcnt lgkmcnt(4)
	v_mul_f32_e32 v23, v45, v3
	v_mul_f32_e32 v8, v45, v2
	s_waitcnt lgkmcnt(3)
	v_mul_f32_e32 v48, v47, v5
	v_mul_f32_e32 v9, v47, v4
	;; [unrolled: 1-line block ×3, first 2 shown]
	v_fmac_f32_e32 v23, v44, v2
	v_fma_f32 v47, v44, v3, -v8
	ds_read_b64 v[44:45], v79 offset:16224
	v_mul_f32_e32 v2, v41, v6
	s_waitcnt lgkmcnt(3)
	v_mul_f32_e32 v10, v43, v12
	v_mul_f32_e32 v3, v43, v11
	v_fmac_f32_e32 v49, v40, v6
	v_mul_f32_e32 v6, v37, v14
	v_fma_f32 v50, v40, v7, -v2
	v_fmac_f32_e32 v10, v42, v11
	v_fma_f32 v11, v42, v12, -v3
	ds_read2_b64 v[40:43], v81 offset0:26 offset1:195
	v_mul_f32_e32 v3, v37, v13
	s_waitcnt lgkmcnt(3)
	v_mul_f32_e32 v2, v39, v16
	v_fmac_f32_e32 v6, v36, v13
	v_fmac_f32_e32 v48, v46, v4
	v_fma_f32 v46, v46, v5, -v9
	v_mul_f32_e32 v4, v39, v15
	v_fma_f32 v7, v36, v14, -v3
	v_fmac_f32_e32 v2, v38, v15
	v_mul_f32_e32 v3, v33, v18
	v_mul_f32_e32 v5, v33, v17
	s_waitcnt lgkmcnt(1)
	v_mul_f32_e32 v13, v27, v44
	v_mul_f32_e32 v8, v35, v20
	;; [unrolled: 1-line block ×3, first 2 shown]
	v_fma_f32 v4, v38, v16, -v4
	v_mul_f32_e32 v9, v35, v19
	v_fma_f32 v13, v26, v45, -v13
	v_fmac_f32_e32 v3, v32, v17
	v_fma_f32 v5, v32, v18, -v5
	v_mul_f32_e32 v12, v29, v22
	v_fmac_f32_e32 v8, v34, v19
	v_mul_f32_e32 v14, v29, v21
	s_waitcnt lgkmcnt(0)
	v_mul_f32_e32 v16, v31, v41
	v_mul_f32_e32 v17, v31, v40
	v_fmac_f32_e32 v15, v26, v44
	v_sub_f32_e32 v18, v47, v13
	v_mul_f32_e32 v19, v25, v43
	v_add_f32_e32 v31, v47, v13
	v_fma_f32 v9, v34, v20, -v9
	v_fmac_f32_e32 v12, v28, v21
	v_fma_f32 v14, v28, v22, -v14
	v_fmac_f32_e32 v16, v30, v40
	v_mul_f32_e32 v20, v25, v42
	v_add_f32_e32 v21, v23, v15
	v_mul_f32_e32 v22, 0xbeedf032, v18
	v_fma_f32 v17, v30, v41, -v17
	v_fmac_f32_e32 v19, v24, v42
	v_mul_f32_e32 v25, 0xbf52af12, v18
	v_mul_f32_e32 v26, 0xbf7e222b, v18
	;; [unrolled: 1-line block ×5, first 2 shown]
	v_sub_f32_e32 v34, v23, v15
	v_mul_f32_e32 v35, 0x3f62ad3f, v31
	v_mul_f32_e32 v37, 0x3f116cb1, v31
	;; [unrolled: 1-line block ×6, first 2 shown]
	v_add_f32_e32 v23, v0, v23
	v_add_f32_e32 v45, v1, v47
	v_fma_f32 v20, v24, v43, -v20
	v_fmamk_f32 v24, v21, 0x3f62ad3f, v22
	v_fma_f32 v22, 0x3f62ad3f, v21, -v22
	v_fmamk_f32 v27, v21, 0x3f116cb1, v25
	;; [unrolled: 2-line block ×7, first 2 shown]
	v_fmac_f32_e32 v35, 0xbeedf032, v34
	v_fmamk_f32 v39, v34, 0x3f52af12, v37
	v_fmac_f32_e32 v37, 0xbf52af12, v34
	v_fmamk_f32 v41, v34, 0x3f7e222b, v38
	;; [unrolled: 2-line block ×5, first 2 shown]
	v_fmac_f32_e32 v31, 0xbe750f2a, v34
	v_add_f32_e32 v23, v23, v48
	v_add_f32_e32 v34, v45, v46
	;; [unrolled: 1-line block ×23, first 2 shown]
	v_sub_f32_e32 v47, v46, v20
	v_add_f32_e32 v21, v1, v21
	v_add_f32_e32 v23, v23, v3
	;; [unrolled: 1-line block ×4, first 2 shown]
	v_mul_f32_e32 v51, 0xbf52af12, v47
	v_add_f32_e32 v39, v1, v39
	v_add_f32_e32 v23, v23, v8
	;; [unrolled: 1-line block ×18, first 2 shown]
	v_sub_f32_e32 v19, v48, v19
	v_mul_f32_e32 v23, 0x3f116cb1, v34
	v_fmamk_f32 v48, v46, 0x3f116cb1, v51
	v_add_f32_e32 v31, v1, v31
	v_add_f32_e32 v1, v20, v13
	;; [unrolled: 1-line block ×3, first 2 shown]
	v_fmamk_f32 v13, v19, 0x3f52af12, v23
	v_add_f32_e32 v15, v48, v24
	v_mul_f32_e32 v20, 0xbf6f5d39, v47
	v_fma_f32 v24, 0x3f116cb1, v46, -v51
	v_fmac_f32_e32 v23, 0xbf52af12, v19
	v_add_f32_e32 v13, v13, v21
	v_mul_f32_e32 v21, 0xbeb58ec6, v34
	v_fmamk_f32 v48, v46, 0xbeb58ec6, v20
	v_add_f32_e32 v22, v24, v22
	v_add_f32_e32 v23, v23, v35
	v_mul_f32_e32 v24, 0xbe750f2a, v47
	v_fmamk_f32 v35, v19, 0x3f6f5d39, v21
	v_add_f32_e32 v27, v48, v27
	v_fma_f32 v20, 0xbeb58ec6, v46, -v20
	v_fmac_f32_e32 v21, 0xbf6f5d39, v19
	v_fmamk_f32 v48, v46, 0xbf788fa5, v24
	v_add_f32_e32 v35, v35, v39
	v_mul_f32_e32 v39, 0xbf788fa5, v34
	v_add_f32_e32 v20, v20, v25
	v_add_f32_e32 v21, v21, v37
	;; [unrolled: 1-line block ×3, first 2 shown]
	v_mul_f32_e32 v29, 0x3f29c268, v47
	v_fmamk_f32 v37, v19, 0x3e750f2a, v39
	v_fma_f32 v24, 0xbf788fa5, v46, -v24
	v_fmac_f32_e32 v39, 0xbe750f2a, v19
	v_mul_f32_e32 v48, 0xbf3f9e67, v34
	v_fmamk_f32 v51, v46, 0xbf3f9e67, v29
	v_add_f32_e32 v37, v37, v41
	v_add_f32_e32 v24, v24, v26
	;; [unrolled: 1-line block ×3, first 2 shown]
	v_fmamk_f32 v38, v19, 0xbf29c268, v48
	v_fma_f32 v29, 0xbf3f9e67, v46, -v29
	v_mul_f32_e32 v39, 0x3f7e222b, v47
	v_mul_f32_e32 v41, 0x3df6dbef, v34
	;; [unrolled: 1-line block ×3, first 2 shown]
	v_add_f32_e32 v38, v38, v43
	v_add_f32_e32 v28, v29, v28
	v_fmamk_f32 v29, v46, 0x3df6dbef, v39
	v_fmamk_f32 v43, v19, 0xbf7e222b, v41
	v_fma_f32 v39, 0x3df6dbef, v46, -v39
	v_mul_f32_e32 v34, 0x3f62ad3f, v34
	v_fmac_f32_e32 v48, 0x3f29c268, v19
	v_add_f32_e32 v29, v29, v33
	v_add_f32_e32 v33, v43, v44
	v_sub_f32_e32 v44, v50, v17
	v_add_f32_e32 v30, v39, v30
	v_fmamk_f32 v39, v46, 0x3f62ad3f, v47
	v_fma_f32 v43, 0x3f62ad3f, v46, -v47
	v_fmac_f32_e32 v41, 0x3f7e222b, v19
	v_fmamk_f32 v46, v19, 0xbeedf032, v34
	v_fmac_f32_e32 v34, 0x3eedf032, v19
	v_add_f32_e32 v17, v50, v17
	v_add_f32_e32 v19, v49, v16
	v_mul_f32_e32 v47, 0xbf7e222b, v44
	v_add_f32_e32 v41, v41, v42
	v_add_f32_e32 v36, v39, v36
	v_sub_f32_e32 v16, v49, v16
	v_mul_f32_e32 v39, 0x3df6dbef, v17
	v_fmamk_f32 v42, v19, 0x3df6dbef, v47
	v_add_f32_e32 v31, v34, v31
	v_add_f32_e32 v45, v46, v45
	;; [unrolled: 1-line block ×3, first 2 shown]
	v_fmamk_f32 v34, v16, 0x3f7e222b, v39
	v_add_f32_e32 v15, v42, v15
	v_mul_f32_e32 v42, 0xbe750f2a, v44
	v_fmac_f32_e32 v39, 0xbf7e222b, v16
	v_fma_f32 v43, 0x3df6dbef, v19, -v47
	v_add_f32_e32 v13, v34, v13
	v_mul_f32_e32 v34, 0xbf788fa5, v17
	v_fmamk_f32 v46, v19, 0xbf788fa5, v42
	v_add_f32_e32 v23, v39, v23
	v_mul_f32_e32 v39, 0x3f6f5d39, v44
	v_add_f32_e32 v22, v43, v22
	v_fmamk_f32 v43, v16, 0x3e750f2a, v34
	v_add_f32_e32 v27, v46, v27
	v_fma_f32 v42, 0xbf788fa5, v19, -v42
	v_fmamk_f32 v46, v19, 0xbeb58ec6, v39
	v_fmac_f32_e32 v34, 0xbe750f2a, v16
	v_add_f32_e32 v35, v43, v35
	v_mul_f32_e32 v43, 0xbeb58ec6, v17
	v_fma_f32 v39, 0xbeb58ec6, v19, -v39
	v_add_f32_e32 v25, v46, v25
	v_mul_f32_e32 v46, 0x3f62ad3f, v17
	v_add_f32_e32 v20, v42, v20
	v_add_f32_e32 v21, v34, v21
	v_mul_f32_e32 v34, 0x3eedf032, v44
	v_fmamk_f32 v42, v16, 0xbf6f5d39, v43
	v_add_f32_e32 v24, v39, v24
	v_fmamk_f32 v39, v16, 0xbeedf032, v46
	v_add_f32_e32 v40, v48, v40
	v_fmac_f32_e32 v43, 0x3f6f5d39, v16
	v_fmamk_f32 v47, v19, 0x3f62ad3f, v34
	v_add_f32_e32 v37, v42, v37
	v_fma_f32 v34, 0x3f62ad3f, v19, -v34
	v_fmac_f32_e32 v46, 0x3eedf032, v16
	v_mul_f32_e32 v42, 0xbf52af12, v44
	v_add_f32_e32 v38, v39, v38
	v_mul_f32_e32 v39, 0x3f116cb1, v17
	v_add_f32_e32 v26, v43, v26
	v_add_f32_e32 v28, v34, v28
	;; [unrolled: 1-line block ×3, first 2 shown]
	v_fmamk_f32 v40, v19, 0x3f116cb1, v42
	v_mul_f32_e32 v43, 0xbf29c268, v44
	v_fmamk_f32 v44, v16, 0x3f52af12, v39
	v_fmac_f32_e32 v39, 0xbf52af12, v16
	v_fma_f32 v42, 0x3f116cb1, v19, -v42
	v_add_f32_e32 v29, v40, v29
	v_fmamk_f32 v40, v19, 0xbf3f9e67, v43
	v_mul_f32_e32 v17, 0xbf3f9e67, v17
	v_add_f32_e32 v39, v39, v41
	v_sub_f32_e32 v41, v11, v14
	v_add_f32_e32 v30, v42, v30
	v_add_f32_e32 v36, v40, v36
	;; [unrolled: 1-line block ×4, first 2 shown]
	v_mul_f32_e32 v42, 0xbf6f5d39, v41
	v_fma_f32 v19, 0xbf3f9e67, v19, -v43
	v_fmamk_f32 v14, v16, 0x3f29c268, v17
	v_fmac_f32_e32 v17, 0xbf29c268, v16
	v_sub_f32_e32 v10, v10, v12
	v_fmamk_f32 v12, v40, 0xbeb58ec6, v42
	v_mul_f32_e32 v16, 0xbeb58ec6, v11
	v_add_f32_e32 v18, v19, v18
	v_add_f32_e32 v17, v17, v31
	v_mul_f32_e32 v19, 0x3f29c268, v41
	v_add_f32_e32 v12, v12, v15
	v_fmamk_f32 v15, v10, 0x3f6f5d39, v16
	v_fma_f32 v31, 0xbeb58ec6, v40, -v42
	v_fmac_f32_e32 v16, 0xbf6f5d39, v10
	v_mul_f32_e32 v42, 0xbf3f9e67, v11
	v_add_f32_e32 v32, v51, v32
	v_add_f32_e32 v13, v15, v13
	v_fmamk_f32 v15, v40, 0xbf3f9e67, v19
	v_add_f32_e32 v22, v31, v22
	v_add_f32_e32 v16, v16, v23
	v_fmamk_f32 v23, v10, 0xbf29c268, v42
	v_mul_f32_e32 v31, 0x3eedf032, v41
	v_fma_f32 v19, 0xbf3f9e67, v40, -v19
	v_fmac_f32_e32 v42, 0x3f29c268, v10
	v_add_f32_e32 v15, v15, v27
	v_add_f32_e32 v23, v23, v35
	v_fmamk_f32 v27, v40, 0x3f62ad3f, v31
	v_mul_f32_e32 v35, 0x3f62ad3f, v11
	v_add_f32_e32 v19, v19, v20
	v_add_f32_e32 v20, v42, v21
	v_mul_f32_e32 v21, 0xbf7e222b, v41
	v_add_f32_e32 v32, v47, v32
	v_add_f32_e32 v25, v27, v25
	v_fmamk_f32 v27, v10, 0xbeedf032, v35
	v_fma_f32 v31, 0x3f62ad3f, v40, -v31
	v_fmac_f32_e32 v35, 0x3eedf032, v10
	v_fmamk_f32 v42, v40, 0x3df6dbef, v21
	v_mul_f32_e32 v43, 0x3df6dbef, v11
	v_add_f32_e32 v27, v27, v37
	v_add_f32_e32 v24, v31, v24
	v_add_f32_e32 v26, v35, v26
	v_add_f32_e32 v31, v42, v32
	v_fmamk_f32 v32, v10, 0x3f7e222b, v43
	v_fma_f32 v21, 0x3df6dbef, v40, -v21
	v_fmac_f32_e32 v43, 0xbf7e222b, v10
	v_mul_f32_e32 v35, 0x3e750f2a, v41
	v_mul_f32_e32 v37, 0xbf788fa5, v11
	v_add_f32_e32 v32, v32, v38
	v_add_f32_e32 v21, v21, v28
	;; [unrolled: 1-line block ×3, first 2 shown]
	v_fmamk_f32 v34, v40, 0xbf788fa5, v35
	v_fmamk_f32 v38, v10, 0xbe750f2a, v37
	v_mul_f32_e32 v41, 0x3f52af12, v41
	v_fma_f32 v35, 0xbf788fa5, v40, -v35
	v_fmac_f32_e32 v37, 0x3e750f2a, v10
	v_add_f32_e32 v29, v34, v29
	v_add_f32_e32 v33, v44, v33
	v_fmamk_f32 v34, v40, 0x3f116cb1, v41
	v_add_f32_e32 v30, v35, v30
	v_add_f32_e32 v35, v37, v39
	v_sub_f32_e32 v37, v7, v9
	v_mul_f32_e32 v11, 0x3f116cb1, v11
	v_add_f32_e32 v34, v34, v36
	v_add_f32_e32 v36, v6, v8
	;; [unrolled: 1-line block ×3, first 2 shown]
	v_mul_f32_e32 v9, 0xbf29c268, v37
	v_add_f32_e32 v14, v14, v45
	v_add_f32_e32 v33, v38, v33
	v_fmamk_f32 v38, v10, 0xbf52af12, v11
	v_fmac_f32_e32 v11, 0x3f52af12, v10
	v_sub_f32_e32 v6, v6, v8
	v_fmamk_f32 v8, v36, 0xbf3f9e67, v9
	v_mul_f32_e32 v10, 0xbf3f9e67, v7
	v_add_f32_e32 v14, v38, v14
	v_add_f32_e32 v11, v11, v17
	v_mul_f32_e32 v17, 0x3f7e222b, v37
	v_add_f32_e32 v8, v8, v12
	v_fmamk_f32 v12, v6, 0x3f29c268, v10
	v_fma_f32 v9, 0xbf3f9e67, v36, -v9
	v_fmac_f32_e32 v10, 0xbf29c268, v6
	v_mul_f32_e32 v38, 0x3df6dbef, v7
	v_fma_f32 v39, 0x3f116cb1, v40, -v41
	v_add_f32_e32 v12, v12, v13
	v_fmamk_f32 v13, v36, 0x3df6dbef, v17
	v_add_f32_e32 v9, v9, v22
	v_add_f32_e32 v10, v10, v16
	v_fmamk_f32 v16, v6, 0xbf7e222b, v38
	v_mul_f32_e32 v22, 0xbf52af12, v37
	v_add_f32_e32 v13, v13, v15
	v_fma_f32 v15, 0x3df6dbef, v36, -v17
	v_fmac_f32_e32 v38, 0x3f7e222b, v6
	v_add_f32_e32 v16, v16, v23
	v_fmamk_f32 v17, v36, 0x3f116cb1, v22
	v_mul_f32_e32 v23, 0x3f116cb1, v7
	v_add_f32_e32 v18, v39, v18
	v_add_f32_e32 v15, v15, v19
	;; [unrolled: 1-line block ×3, first 2 shown]
	v_mul_f32_e32 v20, 0x3e750f2a, v37
	v_add_f32_e32 v17, v17, v25
	v_fmamk_f32 v25, v6, 0x3f52af12, v23
	v_fmac_f32_e32 v23, 0xbf52af12, v6
	v_mul_f32_e32 v39, 0xbf788fa5, v7
	v_fma_f32 v22, 0x3f116cb1, v36, -v22
	v_fmamk_f32 v38, v36, 0xbf788fa5, v20
	v_add_f32_e32 v25, v25, v27
	v_add_f32_e32 v23, v23, v26
	v_fmamk_f32 v26, v6, 0xbe750f2a, v39
	v_mul_f32_e32 v27, 0x3eedf032, v37
	v_add_f32_e32 v22, v22, v24
	v_add_f32_e32 v24, v38, v31
	v_fma_f32 v20, 0xbf788fa5, v36, -v20
	v_mul_f32_e32 v31, 0x3f62ad3f, v7
	v_add_f32_e32 v26, v26, v32
	v_fmamk_f32 v32, v36, 0x3f62ad3f, v27
	v_mul_f32_e32 v37, 0xbf6f5d39, v37
	v_fma_f32 v27, 0x3f62ad3f, v36, -v27
	v_add_f32_e32 v38, v4, v5
	v_add_f32_e32 v20, v20, v21
	v_fmamk_f32 v21, v6, 0xbeedf032, v31
	v_add_f32_e32 v29, v32, v29
	v_fmac_f32_e32 v31, 0x3eedf032, v6
	v_fmamk_f32 v32, v36, 0xbeb58ec6, v37
	v_mul_f32_e32 v7, 0xbeb58ec6, v7
	v_add_f32_e32 v27, v27, v30
	v_sub_f32_e32 v30, v4, v5
	v_fma_f32 v4, 0xbeb58ec6, v36, -v37
	v_sub_f32_e32 v36, v2, v3
	v_mul_f32_e32 v5, 0xbf788fa5, v38
	v_fmac_f32_e32 v39, 0x3e750f2a, v6
	v_add_f32_e32 v21, v21, v33
	v_add_f32_e32 v31, v31, v35
	;; [unrolled: 1-line block ×3, first 2 shown]
	v_fmamk_f32 v33, v6, 0x3f6f5d39, v7
	v_add_f32_e32 v34, v2, v3
	v_mul_f32_e32 v35, 0xbe750f2a, v30
	v_fmac_f32_e32 v7, 0xbf6f5d39, v6
	v_fmamk_f32 v3, v36, 0x3e750f2a, v5
	v_add_f32_e32 v28, v39, v28
	v_add_f32_e32 v37, v4, v18
	v_fmamk_f32 v2, v34, 0xbf788fa5, v35
	v_add_f32_e32 v39, v7, v11
	v_mul_f32_e32 v7, 0x3eedf032, v30
	v_fma_f32 v4, 0xbf788fa5, v34, -v35
	v_fmac_f32_e32 v5, 0xbe750f2a, v36
	v_mul_f32_e32 v11, 0x3f62ad3f, v38
	v_add_f32_e32 v3, v3, v12
	v_mul_f32_e32 v12, 0xbf29c268, v30
	v_add_f32_e32 v2, v2, v8
	v_fmamk_f32 v6, v34, 0x3f62ad3f, v7
	v_add_f32_e32 v4, v4, v9
	v_add_f32_e32 v5, v5, v10
	v_fmamk_f32 v8, v36, 0xbeedf032, v11
	v_fma_f32 v9, 0x3f62ad3f, v34, -v7
	v_fmamk_f32 v10, v34, 0xbf3f9e67, v12
	v_add_f32_e32 v6, v6, v13
	v_fmac_f32_e32 v11, 0x3eedf032, v36
	v_add_f32_e32 v7, v8, v16
	v_mul_f32_e32 v13, 0xbf3f9e67, v38
	v_add_f32_e32 v8, v9, v15
	v_mul_f32_e32 v15, 0x3f52af12, v30
	;; [unrolled: 2-line block ×3, first 2 shown]
	v_add_f32_e32 v9, v11, v19
	v_fmamk_f32 v11, v36, 0x3f29c268, v13
	v_fmac_f32_e32 v13, 0xbf29c268, v36
	v_fma_f32 v18, 0x3f116cb1, v34, -v15
	v_fmamk_f32 v16, v36, 0xbf52af12, v17
	v_mul_f32_e32 v35, 0xbeb58ec6, v38
	v_mul_f32_e32 v19, 0xbf6f5d39, v30
	v_add_f32_e32 v33, v33, v14
	v_fma_f32 v12, 0xbf3f9e67, v34, -v12
	v_fmamk_f32 v14, v34, 0x3f116cb1, v15
	v_add_f32_e32 v11, v11, v25
	v_add_f32_e32 v13, v13, v23
	;; [unrolled: 1-line block ×4, first 2 shown]
	v_fmamk_f32 v20, v36, 0x3f6f5d39, v35
	v_mul_f32_e32 v23, 0x3f7e222b, v30
	v_mul_f32_e32 v25, 0x3df6dbef, v38
	v_fmamk_f32 v18, v34, 0xbeb58ec6, v19
	v_add_f32_e32 v12, v12, v22
	v_add_f32_e32 v14, v14, v24
	v_fma_f32 v22, 0xbeb58ec6, v34, -v19
	v_add_f32_e32 v19, v20, v21
	v_fmamk_f32 v21, v34, 0x3df6dbef, v23
	v_fmamk_f32 v24, v36, 0xbf7e222b, v25
	v_fma_f32 v26, 0x3df6dbef, v34, -v23
	v_fmac_f32_e32 v25, 0x3f7e222b, v36
	v_fmac_f32_e32 v17, 0x3f52af12, v36
	;; [unrolled: 1-line block ×3, first 2 shown]
	v_add_f32_e32 v18, v18, v29
	v_add_f32_e32 v20, v22, v27
	v_add_f32_e32 v22, v21, v32
	v_add_f32_e32 v23, v24, v33
	v_add_f32_e32 v24, v26, v37
	v_add_f32_e32 v25, v25, v39
	v_add_f32_e32 v17, v17, v28
	v_add_f32_e32 v21, v35, v31
	ds_write2_b64 v79, v[0:1], v[2:3] offset1:169
	ds_write2_b64 v85, v[6:7], v[10:11] offset0:82 offset1:251
	ds_write2_b64 v84, v[14:15], v[18:19] offset0:36 offset1:205
	;; [unrolled: 1-line block ×5, first 2 shown]
	ds_write_b64 v79, v[4:5] offset:16224
	s_waitcnt lgkmcnt(0)
	s_barrier
	buffer_gl0_inv
	ds_read2_b64 v[0:3], v79 offset1:169
	v_mad_u64_u32 v[10:11], null, s2, v52, 0
	v_mad_u64_u32 v[14:15], null, s0, v80, 0
	s_mul_hi_u32 s2, s0, 0x548
	s_mulk_i32 s0, 0x548
	s_waitcnt lgkmcnt(0)
	v_mul_f32_e32 v4, v68, v1
	v_mul_f32_e32 v5, v68, v0
	;; [unrolled: 1-line block ×4, first 2 shown]
	v_fmac_f32_e32 v4, v67, v0
	v_fma_f32 v5, v67, v1, -v5
	v_fmac_f32_e32 v16, v59, v2
	v_fma_f32 v2, v59, v3, -v17
	v_cvt_f64_f32_e32 v[0:1], v4
	v_cvt_f64_f32_e32 v[8:9], v5
	ds_read2_b64 v[4:7], v85 offset0:82 offset1:251
	v_cvt_f64_f32_e32 v[18:19], v2
	v_cvt_f64_f32_e32 v[16:17], v16
	v_mul_f64 v[12:13], v[0:1], s[4:5]
	s_waitcnt lgkmcnt(0)
	v_mul_f32_e32 v20, v78, v5
	v_mul_f32_e32 v3, v78, v4
	v_mul_f64 v[8:9], v[8:9], s[4:5]
	v_mul_f32_e32 v23, v76, v6
	v_fmac_f32_e32 v20, v77, v4
	v_fma_f32 v2, v77, v5, -v3
	v_cvt_f64_f32_e32 v[4:5], v20
	v_mad_u64_u32 v[0:1], null, s3, v52, v[11:12]
	v_mov_b32_e32 v1, v15
	v_cvt_f32_f64_e32 v12, v[12:13]
	v_cvt_f32_f64_e32 v13, v[8:9]
	v_mad_u64_u32 v[20:21], null, s1, v80, v[1:2]
	v_cvt_f64_f32_e32 v[21:22], v2
	v_mov_b32_e32 v11, v0
	ds_read2_b64 v[0:3], v84 offset0:36 offset1:205
	s_mulk_i32 s1, 0x548
	s_add_i32 s1, s2, s1
	v_lshlrev_b64 v[10:11], 3, v[10:11]
	v_mov_b32_e32 v15, v20
	v_mul_f32_e32 v20, v76, v7
	v_add_co_u32 v24, vcc_lo, s6, v10
	v_add_co_ci_u32_e32 v25, vcc_lo, s7, v11, vcc_lo
	v_lshlrev_b64 v[8:9], 3, v[14:15]
	v_mul_f64 v[10:11], v[16:17], s[4:5]
	v_mul_f64 v[14:15], v[18:19], s[4:5]
	;; [unrolled: 1-line block ×3, first 2 shown]
	v_fmac_f32_e32 v20, v75, v6
	v_fma_f32 v4, v75, v7, -v23
	v_mul_f64 v[18:19], v[21:22], s[4:5]
	s_waitcnt lgkmcnt(0)
	v_mul_f32_e32 v6, v74, v0
	v_mul_f32_e32 v5, v74, v1
	v_cvt_f64_f32_e32 v[20:21], v20
	v_cvt_f64_f32_e32 v[22:23], v4
	v_fma_f32 v4, v73, v1, -v6
	v_fmac_f32_e32 v5, v73, v0
	v_add_co_u32 v0, vcc_lo, v24, v8
	v_add_co_ci_u32_e32 v1, vcc_lo, v25, v9, vcc_lo
	v_cvt_f64_f32_e32 v[24:25], v4
	v_cvt_f64_f32_e32 v[8:9], v5
	ds_read2_b64 v[4:7], v83 offset0:54 offset1:223
	global_store_dwordx2 v[0:1], v[12:13], off
	v_add_co_u32 v0, vcc_lo, v0, s0
	v_cvt_f32_f64_e32 v10, v[10:11]
	v_cvt_f32_f64_e32 v11, v[14:15]
	;; [unrolled: 1-line block ×3, first 2 shown]
	v_add_co_ci_u32_e32 v1, vcc_lo, s1, v1, vcc_lo
	v_cvt_f32_f64_e32 v13, v[18:19]
	v_mul_f64 v[14:15], v[20:21], s[4:5]
	v_mul_f64 v[16:17], v[22:23], s[4:5]
	v_mul_f32_e32 v22, v72, v3
	v_add_co_u32 v20, vcc_lo, v0, s0
	v_add_co_ci_u32_e32 v21, vcc_lo, s1, v1, vcc_lo
	v_fmac_f32_e32 v22, v71, v2
	v_mul_f32_e32 v2, v72, v2
	v_mul_f64 v[18:19], v[24:25], s[4:5]
	s_waitcnt lgkmcnt(0)
	v_mul_f32_e32 v24, v70, v5
	v_mul_f32_e32 v25, v70, v4
	v_mul_f64 v[8:9], v[8:9], s[4:5]
	v_fma_f32 v2, v71, v3, -v2
	v_mul_f32_e32 v26, v62, v7
	v_fmac_f32_e32 v24, v69, v4
	v_fma_f32 v3, v69, v5, -v25
	global_store_dwordx2 v[0:1], v[10:11], off
	v_cvt_f64_f32_e32 v[4:5], v2
	v_mul_f32_e32 v27, v62, v6
	global_store_dwordx2 v[20:21], v[12:13], off
	v_cvt_f64_f32_e32 v[12:13], v24
	v_cvt_f64_f32_e32 v[24:25], v3
	v_cvt_f32_f64_e32 v14, v[14:15]
	v_cvt_f32_f64_e32 v15, v[16:17]
	v_add_co_u32 v16, vcc_lo, v20, s0
	ds_read2_b64 v[0:3], v82 offset0:72 offset1:241
	v_fmac_f32_e32 v26, v61, v6
	v_fma_f32 v28, v61, v7, -v27
	v_cvt_f64_f32_e32 v[22:23], v22
	v_add_co_ci_u32_e32 v17, vcc_lo, s1, v21, vcc_lo
	v_cvt_f32_f64_e32 v21, v[18:19]
	v_cvt_f32_f64_e32 v20, v[8:9]
	ds_read2_b64 v[8:11], v81 offset0:26 offset1:195
	v_cvt_f64_f32_e32 v[28:29], v28
	v_add_co_u32 v18, vcc_lo, v16, s0
	v_add_co_ci_u32_e32 v19, vcc_lo, s1, v17, vcc_lo
	v_mul_f64 v[4:5], v[4:5], s[4:5]
	v_mul_f64 v[6:7], v[12:13], s[4:5]
	;; [unrolled: 1-line block ×3, first 2 shown]
	v_cvt_f64_f32_e32 v[24:25], v26
	ds_read_b64 v[26:27], v79 offset:16224
	s_waitcnt lgkmcnt(2)
	v_mul_f32_e32 v30, v58, v1
	v_mul_f32_e32 v31, v58, v0
	;; [unrolled: 1-line block ×4, first 2 shown]
	global_store_dwordx2 v[16:17], v[14:15], off
	global_store_dwordx2 v[18:19], v[20:21], off
	s_waitcnt lgkmcnt(1)
	v_mul_f32_e32 v34, v54, v9
	v_mul_f32_e32 v36, v64, v11
	;; [unrolled: 1-line block ×3, first 2 shown]
	v_fmac_f32_e32 v30, v57, v0
	v_fma_f32 v31, v57, v1, -v31
	v_fmac_f32_e32 v34, v53, v8
	v_mul_f32_e32 v8, v54, v8
	v_fmac_f32_e32 v32, v55, v2
	v_fma_f32 v33, v55, v3, -v33
	v_fmac_f32_e32 v36, v63, v10
	s_waitcnt lgkmcnt(0)
	v_mul_f32_e32 v38, v66, v27
	v_mul_f32_e32 v39, v66, v26
	v_fma_f32 v8, v53, v9, -v8
	v_fma_f32 v37, v63, v11, -v37
	v_cvt_f64_f32_e32 v[0:1], v30
	v_cvt_f64_f32_e32 v[2:3], v31
	v_fmac_f32_e32 v38, v65, v26
	v_fma_f32 v39, v65, v27, -v39
	v_cvt_f64_f32_e32 v[30:31], v32
	v_cvt_f64_f32_e32 v[32:33], v33
	v_mul_f64 v[22:23], v[22:23], s[4:5]
	v_cvt_f64_f32_e32 v[34:35], v34
	v_cvt_f64_f32_e32 v[8:9], v8
	;; [unrolled: 1-line block ×6, first 2 shown]
	v_cvt_f32_f64_e32 v15, v[4:5]
	v_mul_f64 v[4:5], v[24:25], s[4:5]
	v_mul_f64 v[16:17], v[28:29], s[4:5]
	v_cvt_f32_f64_e32 v6, v[6:7]
	v_cvt_f32_f64_e32 v7, v[12:13]
	v_add_co_u32 v18, vcc_lo, v18, s0
	v_add_co_ci_u32_e32 v19, vcc_lo, s1, v19, vcc_lo
	v_mul_f64 v[0:1], v[0:1], s[4:5]
	v_mul_f64 v[2:3], v[2:3], s[4:5]
	;; [unrolled: 1-line block ×4, first 2 shown]
	v_cvt_f32_f64_e32 v14, v[22:23]
	v_mul_f64 v[22:23], v[34:35], s[4:5]
	v_mul_f64 v[8:9], v[8:9], s[4:5]
	;; [unrolled: 1-line block ×6, first 2 shown]
	v_add_co_u32 v30, vcc_lo, v18, s0
	v_add_co_ci_u32_e32 v31, vcc_lo, s1, v19, vcc_lo
	v_cvt_f32_f64_e32 v4, v[4:5]
	v_cvt_f32_f64_e32 v5, v[16:17]
	v_add_co_u32 v16, vcc_lo, v30, s0
	v_add_co_ci_u32_e32 v17, vcc_lo, s1, v31, vcc_lo
	v_cvt_f32_f64_e32 v0, v[0:1]
	v_cvt_f32_f64_e32 v1, v[2:3]
	;; [unrolled: 4-line block ×3, first 2 shown]
	v_cvt_f32_f64_e32 v20, v[22:23]
	v_cvt_f32_f64_e32 v21, v[8:9]
	;; [unrolled: 1-line block ×6, first 2 shown]
	v_add_co_u32 v22, vcc_lo, v2, s0
	v_add_co_ci_u32_e32 v23, vcc_lo, s1, v3, vcc_lo
	global_store_dwordx2 v[18:19], v[14:15], off
	v_add_co_u32 v14, vcc_lo, v22, s0
	v_add_co_ci_u32_e32 v15, vcc_lo, s1, v23, vcc_lo
	global_store_dwordx2 v[30:31], v[6:7], off
	;; [unrolled: 3-line block ×4, first 2 shown]
	global_store_dwordx2 v[22:23], v[12:13], off
	global_store_dwordx2 v[14:15], v[20:21], off
	;; [unrolled: 1-line block ×4, first 2 shown]
.LBB0_2:
	s_endpgm
	.section	.rodata,"a",@progbits
	.p2align	6, 0x0
	.amdhsa_kernel bluestein_single_back_len2197_dim1_sp_op_CI_CI
		.amdhsa_group_segment_fixed_size 17576
		.amdhsa_private_segment_fixed_size 0
		.amdhsa_kernarg_size 104
		.amdhsa_user_sgpr_count 6
		.amdhsa_user_sgpr_private_segment_buffer 1
		.amdhsa_user_sgpr_dispatch_ptr 0
		.amdhsa_user_sgpr_queue_ptr 0
		.amdhsa_user_sgpr_kernarg_segment_ptr 1
		.amdhsa_user_sgpr_dispatch_id 0
		.amdhsa_user_sgpr_flat_scratch_init 0
		.amdhsa_user_sgpr_private_segment_size 0
		.amdhsa_wavefront_size32 1
		.amdhsa_uses_dynamic_stack 0
		.amdhsa_system_sgpr_private_segment_wavefront_offset 0
		.amdhsa_system_sgpr_workgroup_id_x 1
		.amdhsa_system_sgpr_workgroup_id_y 0
		.amdhsa_system_sgpr_workgroup_id_z 0
		.amdhsa_system_sgpr_workgroup_info 0
		.amdhsa_system_vgpr_workitem_id 0
		.amdhsa_next_free_vgpr 187
		.amdhsa_next_free_sgpr 20
		.amdhsa_reserve_vcc 1
		.amdhsa_reserve_flat_scratch 0
		.amdhsa_float_round_mode_32 0
		.amdhsa_float_round_mode_16_64 0
		.amdhsa_float_denorm_mode_32 3
		.amdhsa_float_denorm_mode_16_64 3
		.amdhsa_dx10_clamp 1
		.amdhsa_ieee_mode 1
		.amdhsa_fp16_overflow 0
		.amdhsa_workgroup_processor_mode 1
		.amdhsa_memory_ordered 1
		.amdhsa_forward_progress 0
		.amdhsa_shared_vgpr_count 0
		.amdhsa_exception_fp_ieee_invalid_op 0
		.amdhsa_exception_fp_denorm_src 0
		.amdhsa_exception_fp_ieee_div_zero 0
		.amdhsa_exception_fp_ieee_overflow 0
		.amdhsa_exception_fp_ieee_underflow 0
		.amdhsa_exception_fp_ieee_inexact 0
		.amdhsa_exception_int_div_zero 0
	.end_amdhsa_kernel
	.text
.Lfunc_end0:
	.size	bluestein_single_back_len2197_dim1_sp_op_CI_CI, .Lfunc_end0-bluestein_single_back_len2197_dim1_sp_op_CI_CI
                                        ; -- End function
	.section	.AMDGPU.csdata,"",@progbits
; Kernel info:
; codeLenInByte = 21364
; NumSgprs: 22
; NumVgprs: 187
; ScratchSize: 0
; MemoryBound: 0
; FloatMode: 240
; IeeeMode: 1
; LDSByteSize: 17576 bytes/workgroup (compile time only)
; SGPRBlocks: 2
; VGPRBlocks: 23
; NumSGPRsForWavesPerEU: 22
; NumVGPRsForWavesPerEU: 187
; Occupancy: 5
; WaveLimiterHint : 1
; COMPUTE_PGM_RSRC2:SCRATCH_EN: 0
; COMPUTE_PGM_RSRC2:USER_SGPR: 6
; COMPUTE_PGM_RSRC2:TRAP_HANDLER: 0
; COMPUTE_PGM_RSRC2:TGID_X_EN: 1
; COMPUTE_PGM_RSRC2:TGID_Y_EN: 0
; COMPUTE_PGM_RSRC2:TGID_Z_EN: 0
; COMPUTE_PGM_RSRC2:TIDIG_COMP_CNT: 0
	.text
	.p2alignl 6, 3214868480
	.fill 48, 4, 3214868480
	.type	__hip_cuid_54f6c76b1fac58c1,@object ; @__hip_cuid_54f6c76b1fac58c1
	.section	.bss,"aw",@nobits
	.globl	__hip_cuid_54f6c76b1fac58c1
__hip_cuid_54f6c76b1fac58c1:
	.byte	0                               ; 0x0
	.size	__hip_cuid_54f6c76b1fac58c1, 1

	.ident	"AMD clang version 19.0.0git (https://github.com/RadeonOpenCompute/llvm-project roc-6.4.0 25133 c7fe45cf4b819c5991fe208aaa96edf142730f1d)"
	.section	".note.GNU-stack","",@progbits
	.addrsig
	.addrsig_sym __hip_cuid_54f6c76b1fac58c1
	.amdgpu_metadata
---
amdhsa.kernels:
  - .args:
      - .actual_access:  read_only
        .address_space:  global
        .offset:         0
        .size:           8
        .value_kind:     global_buffer
      - .actual_access:  read_only
        .address_space:  global
        .offset:         8
        .size:           8
        .value_kind:     global_buffer
      - .actual_access:  read_only
        .address_space:  global
        .offset:         16
        .size:           8
        .value_kind:     global_buffer
      - .actual_access:  read_only
        .address_space:  global
        .offset:         24
        .size:           8
        .value_kind:     global_buffer
      - .actual_access:  read_only
        .address_space:  global
        .offset:         32
        .size:           8
        .value_kind:     global_buffer
      - .offset:         40
        .size:           8
        .value_kind:     by_value
      - .address_space:  global
        .offset:         48
        .size:           8
        .value_kind:     global_buffer
      - .address_space:  global
        .offset:         56
        .size:           8
        .value_kind:     global_buffer
      - .address_space:  global
        .offset:         64
        .size:           8
        .value_kind:     global_buffer
      - .address_space:  global
        .offset:         72
        .size:           8
        .value_kind:     global_buffer
      - .offset:         80
        .size:           4
        .value_kind:     by_value
      - .address_space:  global
        .offset:         88
        .size:           8
        .value_kind:     global_buffer
      - .address_space:  global
        .offset:         96
        .size:           8
        .value_kind:     global_buffer
    .group_segment_fixed_size: 17576
    .kernarg_segment_align: 8
    .kernarg_segment_size: 104
    .language:       OpenCL C
    .language_version:
      - 2
      - 0
    .max_flat_workgroup_size: 169
    .name:           bluestein_single_back_len2197_dim1_sp_op_CI_CI
    .private_segment_fixed_size: 0
    .sgpr_count:     22
    .sgpr_spill_count: 0
    .symbol:         bluestein_single_back_len2197_dim1_sp_op_CI_CI.kd
    .uniform_work_group_size: 1
    .uses_dynamic_stack: false
    .vgpr_count:     187
    .vgpr_spill_count: 0
    .wavefront_size: 32
    .workgroup_processor_mode: 1
amdhsa.target:   amdgcn-amd-amdhsa--gfx1030
amdhsa.version:
  - 1
  - 2
...

	.end_amdgpu_metadata
